;; amdgpu-corpus repo=zjin-lcf/HeCBench kind=compiled arch=gfx906 opt=O3
	.amdgcn_target "amdgcn-amd-amdhsa--gfx906"
	.amdhsa_code_object_version 6
	.text
	.p2align	2                               ; -- Begin function _Z17MT_generate_arrayv
	.type	_Z17MT_generate_arrayv,@function
_Z17MT_generate_arrayv:                 ; @_Z17MT_generate_arrayv
; %bb.0:
	s_waitcnt vmcnt(0) expcnt(0) lgkmcnt(0)
	v_bfe_u32 v4, v31, 5, 5
	v_lshlrev_b32_e32 v0, 4, v4
	ds_read_b128 v[0:3], v0 offset:17280
	v_and_b32_e32 v5, 31, v31
	s_waitcnt lgkmcnt(0)
	v_sub_u32_e32 v6, 0x65, v0
	v_min_i32_e32 v6, 0x60, v6
	v_cmp_lt_u32_e32 vcc, v5, v6
	s_and_saveexec_b64 s[4:5], vcc
	s_cbranch_execz .LBB0_3
; %bb.1:
	s_mov_b64 s[6:7], src_shared_base
	s_movk_i32 s6, 0x194
	v_lshlrev_b32_e32 v9, 2, v0
	v_mov_b32_e32 v8, 0x3140
	v_mad_u32_u24 v9, v4, s6, v9
	s_movk_i32 s6, 0x180
	v_mov_b32_e32 v11, 0x1940
	v_mul_u32_u24_e32 v7, 0x194, v4
	v_lshl_add_u32 v8, v4, 7, v8
	v_lshlrev_b32_e32 v10, 2, v5
	v_mad_u32_u24 v11, v4, s6, v11
	s_mov_b64 s[8:9], 0
	v_mov_b32_e32 v12, v5
.LBB0_2:                                ; =>This Inner Loop Header: Depth=1
	v_add_u32_e32 v13, v7, v10
	v_mov_b32_e32 v14, s7
	flat_load_dword v19, v[13:14] glc
	s_waitcnt vmcnt(0)
	v_add_u32_e32 v17, 4, v13
	v_mov_b32_e32 v18, s7
	v_add_u32_e32 v15, v9, v10
	v_mov_b32_e32 v16, s7
	flat_load_dword v20, v[17:18] glc
	s_waitcnt vmcnt(0)
	flat_load_dword v21, v[15:16] glc
	s_waitcnt vmcnt(0)
	v_add_u32_e32 v15, -4, v15
	v_add_u32_e32 v12, 32, v12
	v_cmp_ge_u32_e32 vcc, v12, v6
	v_add_u32_e32 v9, 0x80, v9
	v_add_u32_e32 v7, 0x80, v7
	s_or_b64 s[8:9], vcc, s[8:9]
	s_waitcnt lgkmcnt(0)
	v_and_b32_e32 v17, v19, v3
	v_xor_b32_e32 v17, v17, v20
	v_lshrrev_b32_e32 v18, v2, v21
	v_lshlrev_b32_e32 v19, v1, v17
	v_xor_b32_e32 v18, v18, v19
	v_xor_b32_e32 v17, v18, v17
	v_and_b32_e32 v18, 15, v17
	v_lshl_add_u32 v18, v18, 2, v8
	ds_read_b32 v18, v18
	flat_load_dword v19, v[15:16] glc
	s_waitcnt vmcnt(0)
	v_add_u32_e32 v15, v11, v10
	v_add_u32_e32 v11, 0x80, v11
	s_waitcnt lgkmcnt(0)
	v_xor_b32_e32 v17, v17, v18
	v_lshrrev_b32_e32 v18, 9, v17
	v_xor_b32_sdwa v19, v19, v19 dst_sel:DWORD dst_unused:UNUSED_PAD src0_sel:WORD_1 src1_sel:DWORD
	v_lshrrev_b32_e32 v20, 8, v19
	v_xor_b32_e32 v19, v20, v19
	v_and_b32_e32 v19, 15, v19
	v_lshl_add_u32 v19, v19, 2, v8
	ds_read_b32 v19, v19 offset:64
	s_waitcnt lgkmcnt(0)
	v_xor_b32_e32 v18, v18, v19
	v_or_b32_e32 v18, 1, v18
	v_add_f32_e32 v18, -1.0, v18
	flat_store_dword v[15:16], v18
	s_waitcnt vmcnt(0)
	flat_store_dword v[13:14], v17
	s_waitcnt vmcnt(0)
	s_andn2_b64 exec, exec, s[8:9]
	s_cbranch_execnz .LBB0_2
.LBB0_3:
	s_or_b64 exec, exec, s[4:5]
	v_add_u32_e32 v9, v6, v5
	s_movk_i32 s12, 0x65
	v_cmp_gt_i32_e32 vcc, s12, v9
	s_and_saveexec_b64 s[4:5], vcc
	s_cbranch_execz .LBB0_8
; %bb.4:
	s_mov_b64 s[6:7], src_shared_base
	v_mul_u32_u24_e32 v8, 0x180, v4
	v_lshlrev_b32_e32 v10, 2, v9
	s_movk_i32 s6, 0x1940
	v_add_u32_e32 v6, v0, v6
	v_mov_b32_e32 v7, 0x3140
	v_add3_u32 v8, v8, v10, s6
	v_add_lshl_u32 v5, v6, v5, 2
	s_movk_i32 s6, 0x194
	v_lshl_add_u32 v7, v4, 7, v7
	v_subrev_u32_e32 v11, 32, v9
	v_mad_u32_u24 v6, v4, s6, v5
	v_mad_u32_u24 v9, v4, s6, v10
	s_mov_b32 s6, 0
	s_mov_b64 s[8:9], 0
	s_movk_i32 s13, 0x44
	v_mov_b32_e32 v10, 0xfffffe6c
	s_movk_i32 s14, 0x60
	s_branch .LBB0_6
.LBB0_5:                                ;   in Loop: Header=BB0_6 Depth=1
	s_or_b64 exec, exec, s[10:11]
	s_addk_i32 s6, 0x80
	v_cmp_lt_i32_e32 vcc, s13, v11
	s_or_b64 s[8:9], vcc, s[8:9]
	flat_store_dword v[4:5], v12
	s_waitcnt vmcnt(0)
	s_andn2_b64 exec, exec, s[8:9]
	s_cbranch_execz .LBB0_8
.LBB0_6:                                ; =>This Inner Loop Header: Depth=1
	v_mov_b32_e32 v15, v11
	v_cmp_eq_u32_e32 vcc, s13, v15
	v_add_u32_e32 v4, s6, v9
	v_cndmask_b32_e32 v11, 0, v10, vcc
	v_mov_b32_e32 v5, s7
	v_add3_u32 v11, v4, v11, 4
	v_mov_b32_e32 v12, s7
	v_add_u32_e32 v13, v0, v15
	flat_load_dword v16, v[4:5] glc
	s_waitcnt vmcnt(0)
	flat_load_dword v17, v[11:12] glc
	s_waitcnt vmcnt(0)
	v_add_u32_e32 v11, 32, v13
	v_cmp_gt_u32_e32 vcc, s12, v11
	v_cndmask_b32_e64 v11, v10, 0, vcc
	v_add_u32_e32 v14, s6, v6
	v_add_u32_e32 v11, v14, v11
	flat_load_dword v11, v[11:12] glc
	s_waitcnt vmcnt(0) lgkmcnt(0)
	v_and_b32_e32 v12, v16, v3
	v_xor_b32_e32 v12, v12, v17
	v_lshlrev_b32_e32 v16, v1, v12
	v_lshrrev_b32_e32 v11, v2, v11
	v_xor_b32_e32 v11, v11, v16
	v_xor_b32_e32 v12, v11, v12
	v_and_b32_e32 v11, 15, v12
	v_lshl_add_u32 v11, v11, 2, v7
	ds_read_b32 v16, v11
	v_add_u32_e32 v11, 32, v15
	v_cmp_gt_i32_e32 vcc, s14, v11
	s_waitcnt lgkmcnt(0)
	v_xor_b32_e32 v12, v12, v16
	s_and_saveexec_b64 s[10:11], vcc
	s_cbranch_execz .LBB0_5
; %bb.7:                                ;   in Loop: Header=BB0_6 Depth=1
	v_add_u32_e32 v13, 31, v13
	v_cmp_gt_u32_e32 vcc, s12, v13
	v_cndmask_b32_e64 v13, v10, 0, vcc
	v_add3_u32 v13, v14, v13, -4
	v_mov_b32_e32 v14, s7
	flat_load_dword v13, v[13:14] glc
	s_waitcnt vmcnt(0) lgkmcnt(0)
	v_xor_b32_sdwa v13, v13, v13 dst_sel:DWORD dst_unused:UNUSED_PAD src0_sel:WORD_1 src1_sel:DWORD
	v_lshrrev_b32_e32 v15, 8, v13
	v_xor_b32_e32 v13, v15, v13
	v_and_b32_e32 v13, 15, v13
	v_lshl_add_u32 v13, v13, 2, v7
	ds_read_b32 v13, v13 offset:64
	v_lshrrev_b32_e32 v15, 9, v12
	s_waitcnt lgkmcnt(0)
	v_xor_b32_e32 v13, v13, v15
	v_or_b32_e32 v13, 1, v13
	v_add_f32_e32 v15, -1.0, v13
	v_add_u32_e32 v13, s6, v8
	flat_store_dword v[13:14], v15
	s_waitcnt vmcnt(0)
	s_branch .LBB0_5
.LBB0_8:
	s_or_b64 exec, exec, s[4:5]
	s_waitcnt lgkmcnt(0)
	s_setpc_b64 s[30:31]
.Lfunc_end0:
	.size	_Z17MT_generate_arrayv, .Lfunc_end0-_Z17MT_generate_arrayv
                                        ; -- End function
	.set .L_Z17MT_generate_arrayv.num_vgpr, 32
	.set .L_Z17MT_generate_arrayv.num_agpr, 0
	.set .L_Z17MT_generate_arrayv.numbered_sgpr, 32
	.set .L_Z17MT_generate_arrayv.num_named_barrier, 0
	.set .L_Z17MT_generate_arrayv.private_seg_size, 0
	.set .L_Z17MT_generate_arrayv.uses_vcc, 1
	.set .L_Z17MT_generate_arrayv.uses_flat_scratch, 0
	.set .L_Z17MT_generate_arrayv.has_dyn_sized_stack, 0
	.set .L_Z17MT_generate_arrayv.has_recursion, 0
	.set .L_Z17MT_generate_arrayv.has_indirect_call, 0
	.section	.AMDGPU.csdata,"",@progbits
; Function info:
; codeLenInByte = 856
; TotalNumSgprs: 36
; NumVgprs: 32
; ScratchSize: 0
; MemoryBound: 0
	.text
	.protected	_Z22simulation_step_kernelbb ; -- Begin function _Z22simulation_step_kernelbb
	.globl	_Z22simulation_step_kernelbb
	.p2align	8
	.type	_Z22simulation_step_kernelbb,@function
_Z22simulation_step_kernelbb:           ; @_Z22simulation_step_kernelbb
; %bb.0:
	s_add_u32 s0, s0, s8
	s_load_dword s8, s[4:5], 0x8
	s_addc_u32 s1, s1, 0
	s_mov_b64 s[16:17], s[4:5]
	s_add_u32 s4, s16, 8
	s_addc_u32 s5, s17, 0
	s_waitcnt lgkmcnt(0)
	s_mul_i32 s7, s8, s7
	s_add_i32 s28, s7, s6
	s_cmp_lt_u32 s6, s8
	s_cselect_b32 s6, 12, 18
	s_add_u32 s6, s4, s6
	s_addc_u32 s7, s5, 0
	v_mov_b32_e32 v1, 0
	global_load_ushort v2, v1, s[6:7]
	s_getpc_b64 s[6:7]
	s_add_u32 s6, s6, detector@rel32@lo+28
	s_addc_u32 s7, s7, detector@rel32@hi+36
	s_load_dwordx2 s[6:7], s[6:7], 0x0
	s_mov_b32 s29, 0
                                        ; implicit-def: $vgpr63 : SGPR spill to VGPR lane
	v_mov_b32_e32 v31, v0
	s_movk_i32 s32, 0x6000
	s_waitcnt lgkmcnt(0)
	s_mul_i32 s14, s7, s6
	s_lshl_b64 s[6:7], s[28:29], 5
	s_getpc_b64 s[8:9]
	s_add_u32 s8, s8, detector_scores_count@rel32@lo+4
	s_addc_u32 s9, s9, detector_scores_count@rel32@hi+12
	s_add_u32 s8, s8, s6
	s_addc_u32 s9, s9, s7
	v_writelane_b32 v63, s8, 0
	v_writelane_b32 v63, s9, 1
	s_getpc_b64 s[8:9]
	s_add_u32 s8, s8, detector_scores_energy@rel32@lo+4
	s_addc_u32 s9, s9, detector_scores_energy@rel32@hi+12
	s_add_u32 s62, s8, s6
	v_cmp_gt_u32_e32 vcc, s14, v31
	s_addc_u32 s63, s9, s7
	s_and_saveexec_b64 s[6:7], vcc
	s_cbranch_execz .LBB1_9
; %bb.1:
	v_readlane_b32 s8, v63, 0
	v_readlane_b32 s9, v63, 1
	s_load_dword s15, s[4:5], 0xc
	s_nop 0
	s_load_dwordx2 s[8:9], s[8:9], 0x0
	s_nop 0
	s_load_dwordx2 s[10:11], s[62:63], 0x0
	s_mov_b64 s[12:13], 0
	v_mov_b32_e32 v0, v31
                                        ; kill: killed $sgpr4 killed $sgpr5
	s_waitcnt lgkmcnt(0)
	s_and_b32 s15, s15, 0xffff
	v_mov_b32_e32 v3, s9
	v_mov_b32_e32 v4, s11
.LBB1_2:                                ; =>This Inner Loop Header: Depth=1
	v_lshlrev_b64 v[5:6], 2, v[0:1]
	v_add_u32_e32 v0, s15, v0
	v_add_co_u32_e64 v7, s[4:5], s8, v5
	v_cmp_le_u32_e32 vcc, s14, v0
	v_addc_co_u32_e64 v8, s[4:5], v3, v6, s[4:5]
	v_add_co_u32_e64 v5, s[4:5], s10, v5
	s_or_b64 s[12:13], vcc, s[12:13]
	v_addc_co_u32_e64 v6, s[4:5], v4, v6, s[4:5]
	global_store_dword v[7:8], v1, off
	global_store_dword v[5:6], v1, off
	s_andn2_b64 exec, exec, s[12:13]
	s_cbranch_execnz .LBB1_2
; %bb.3:
	s_or_b64 exec, exec, s[12:13]
	v_readlane_b32 s4, v63, 0
	v_readlane_b32 s5, v63, 1
	s_load_dwordx2 s[8:9], s[4:5], 0x8
	s_load_dwordx2 s[12:13], s[62:63], 0x8
	s_mov_b64 s[10:11], 0
	v_mov_b32_e32 v1, 0
	v_mov_b32_e32 v0, v31
	s_waitcnt lgkmcnt(0)
	v_mov_b32_e32 v3, s9
	v_mov_b32_e32 v4, s13
.LBB1_4:                                ; =>This Inner Loop Header: Depth=1
	v_lshlrev_b64 v[5:6], 2, v[0:1]
	v_add_u32_e32 v0, s15, v0
	v_add_co_u32_e64 v7, s[4:5], s8, v5
	v_cmp_le_u32_e32 vcc, s14, v0
	v_addc_co_u32_e64 v8, s[4:5], v3, v6, s[4:5]
	v_add_co_u32_e64 v5, s[4:5], s12, v5
	s_or_b64 s[10:11], vcc, s[10:11]
	v_addc_co_u32_e64 v6, s[4:5], v4, v6, s[4:5]
	global_store_dword v[7:8], v1, off
	global_store_dword v[5:6], v1, off
	s_andn2_b64 exec, exec, s[10:11]
	s_cbranch_execnz .LBB1_4
; %bb.5:
	s_or_b64 exec, exec, s[10:11]
	v_readlane_b32 s4, v63, 0
	v_readlane_b32 s5, v63, 1
	s_load_dwordx2 s[8:9], s[4:5], 0x10
	s_load_dwordx2 s[12:13], s[62:63], 0x10
	s_mov_b64 s[10:11], 0
	v_mov_b32_e32 v1, 0
	v_mov_b32_e32 v0, v31
	s_waitcnt lgkmcnt(0)
	;; [unrolled: 25-line block ×3, first 2 shown]
	v_mov_b32_e32 v3, s9
	v_mov_b32_e32 v4, s11
.LBB1_8:                                ; =>This Inner Loop Header: Depth=1
	v_lshlrev_b64 v[5:6], 2, v[0:1]
	v_add_u32_e32 v0, s15, v0
	v_add_co_u32_e64 v7, s[4:5], s8, v5
	v_cmp_le_u32_e32 vcc, s14, v0
	v_addc_co_u32_e64 v8, s[4:5], v3, v6, s[4:5]
	v_add_co_u32_e64 v5, s[4:5], s10, v5
	s_or_b64 s[12:13], vcc, s[12:13]
	v_addc_co_u32_e64 v6, s[4:5], v4, v6, s[4:5]
	global_store_dword v[7:8], v1, off
	global_store_dword v[5:6], v1, off
	s_andn2_b64 exec, exec, s[12:13]
	s_cbranch_execnz .LBB1_8
.LBB1_9:
	s_or_b64 exec, exec, s[6:7]
	v_lshrrev_b32_e32 v22, 5, v31
	v_mov_b32_e32 v0, 0x4140
	v_and_b32_e32 v39, 31, v31
	v_mad_u32_u24 v43, v22, 36, v0
	v_cmp_gt_u16_e32 vcc, 9, v39
	s_waitcnt vmcnt(0)
	s_barrier
	s_and_saveexec_b64 s[4:5], vcc
	s_cbranch_execz .LBB1_11
; %bb.10:
	s_mov_b64 s[6:7], src_shared_base
	v_lshl_add_u32 v0, v39, 2, v43
	v_mov_b32_e32 v1, s7
	v_mov_b32_e32 v3, 0
	flat_store_dword v[0:1], v3
	s_waitcnt vmcnt(0)
.LBB1_11:
	s_or_b64 exec, exec, s[4:5]
	v_cmp_eq_u16_e64 s[18:19], 0, v39
	v_lshlrev_b32_e32 v23, 2, v22
	s_and_saveexec_b64 s[4:5], s[18:19]
	s_cbranch_execz .LBB1_13
; %bb.12:
	s_mov_b64 s[6:7], src_shared_base
	v_mov_b32_e32 v5, 0x4480
	v_mov_b32_e32 v7, 0
	v_lshl_add_u32 v5, v22, 3, v5
	v_mov_b32_e32 v6, s7
	v_mov_b32_e32 v8, v7
	v_add_u32_e32 v0, 0x4540, v23
	v_mov_b32_e32 v1, s7
	v_or_b32_e32 v3, 0x4500, v23
	v_mov_b32_e32 v4, s7
	flat_store_dwordx2 v[5:6], v[7:8]
	s_waitcnt vmcnt(0)
	flat_store_dword v[3:4], v7
	s_waitcnt vmcnt(0)
	flat_store_dword v[0:1], v7
	s_waitcnt vmcnt(0)
.LBB1_13:
	s_or_b64 exec, exec, s[4:5]
	v_lshl_add_u32 v45, s28, 4, v22
	s_and_saveexec_b64 s[4:5], s[18:19]
	s_cbranch_execz .LBB1_15
; %bb.14:
	s_getpc_b64 s[8:9]
	s_add_u32 s8, s8, MT_params@rel32@lo+4
	s_addc_u32 s9, s9, MT_params@rel32@hi+12
	s_load_dwordx2 s[8:9], s[8:9], 0x0
	v_mov_b32_e32 v46, 0
	v_lshlrev_b64 v[0:1], 4, v[45:46]
	s_mov_b64 s[6:7], src_shared_base
	v_lshlrev_b32_e32 v7, 4, v22
	s_waitcnt lgkmcnt(0)
	v_mov_b32_e32 v3, s9
	v_add_co_u32_e32 v0, vcc, s8, v0
	v_addc_co_u32_e32 v1, vcc, v3, v1, vcc
	global_load_dwordx4 v[3:6], v[0:1], off
	v_or_b32_e32 v0, 0x4580, v22
	v_mov_b32_e32 v1, s7
	v_add_u32_e32 v8, 0x4380, v7
	v_add_u32_e32 v7, 0x4388, v7
	s_waitcnt vmcnt(0)
	ds_write2_b32 v7, v5, v6 offset1:1
	ds_write2_b32 v8, v3, v4 offset1:1
	flat_store_byte v[0:1], v46
	s_waitcnt vmcnt(0)
.LBB1_15:
	s_or_b64 exec, exec, s[4:5]
	s_getpc_b64 s[4:5]
	s_add_u32 s4, s4, MT_statuses@rel32@lo+4
	s_addc_u32 s5, s5, MT_statuses@rel32@hi+12
	s_load_dwordx2 s[34:35], s[4:5], 0x0
	v_lshlrev_b32_e32 v24, 2, v39
	s_movk_i32 s4, 0x194
	v_mad_u32_u24 v40, v22, s4, v24
	v_lshlrev_b32_e32 v3, 7, v45
	s_mov_b64 s[4:5], 0
	v_mov_b32_e32 v1, 0
	s_waitcnt lgkmcnt(0)
	v_mov_b32_e32 v4, s35
	s_movk_i32 s6, 0x44
	v_mov_b32_e32 v5, v40
	v_mov_b32_e32 v6, v39
.LBB1_16:                               ; =>This Inner Loop Header: Depth=1
	v_add_u32_e32 v0, v3, v6
	v_lshlrev_b64 v[7:8], 2, v[0:1]
	v_add_co_u32_e32 v7, vcc, s34, v7
	v_addc_co_u32_e32 v8, vcc, v4, v8, vcc
	global_load_dword v0, v[7:8], off
	v_add_u32_e32 v7, 32, v6
	v_cmp_lt_u32_e32 vcc, s6, v6
	s_or_b64 s[4:5], vcc, s[4:5]
	v_mov_b32_e32 v6, v7
	s_waitcnt vmcnt(0)
	ds_write_b32 v5, v0
	v_add_u32_e32 v5, 0x80, v5
	s_andn2_b64 exec, exec, s[4:5]
	s_cbranch_execnz .LBB1_16
; %bb.17:
	s_or_b64 exec, exec, s[4:5]
	s_mov_b64 s[4:5], src_shared_base
	s_load_dword s4, s[16:17], 0x0
	v_mov_b32_e32 v46, 0
	v_lshlrev_b64 v[0:1], 7, v[45:46]
	v_mov_b32_e32 v48, 2
	v_lshlrev_b32_e32 v47, 7, v22
	s_waitcnt lgkmcnt(0)
	s_bitcmp1_b32 s4, 0
	s_cselect_b64 s[20:21], -1, 0
	s_bitcmp1_b32 s4, 8
	s_cselect_b64 s[64:65], -1, 0
	s_getpc_b64 s[6:7]
	s_add_u32 s6, s6, MT_tables@rel32@lo+4
	s_addc_u32 s7, s7, MT_tables@rel32@hi+12
	s_load_dwordx2 s[6:7], s[6:7], 0x0
	s_add_u32 s8, s16, 8
	s_addc_u32 s9, s17, 0
	v_mov_b32_e32 v44, s5
	s_getpc_b64 s[4:5]
	s_add_u32 s4, s4, _Z17MT_generate_arrayv@rel32@lo+4
	s_addc_u32 s5, s5, _Z17MT_generate_arrayv@rel32@hi+12
	s_waitcnt lgkmcnt(0)
	v_mov_b32_e32 v3, s7
	v_add_co_u32_e32 v0, vcc, s6, v0
	v_addc_co_u32_e32 v1, vcc, v3, v1, vcc
	v_lshlrev_b32_sdwa v3, v48, v39 dst_sel:DWORD dst_unused:UNUSED_PAD src0_sel:DWORD src1_sel:WORD_0
	v_add_co_u32_e32 v0, vcc, v0, v3
	v_addc_co_u32_e32 v1, vcc, 0, v1, vcc
	global_load_dword v0, v[0:1], off
	v_and_b32_e32 v1, 0xffff, v2
	v_mul_lo_u32 v1, s28, v1
	v_or_b32_e32 v2, v47, v24
	s_mov_b32 s67, 0
	v_add_u32_e32 v27, 0x3940, v47
	v_add_u32_e32 v25, v1, v31
	s_waitcnt vmcnt(0)
	ds_write_b32 v2, v0 offset:12608
	s_swappc_b64 s[30:31], s[4:5]
	v_add_u32_e32 v9, v27, v24
	v_mov_b32_e32 v10, v44
	buffer_store_dword v9, off, s[0:3], 0   ; 4-byte Folded Spill
	s_nop 0
	buffer_store_dword v10, off, s[0:3], 0 offset:4 ; 4-byte Folded Spill
	s_getpc_b64 s[8:9]
	s_add_u32 s8, s8, stack@rel32@lo+4
	s_addc_u32 s9, s9, stack@rel32@hi+12
	s_load_dwordx4 s[4:7], s[8:9], 0x0
	v_mov_b32_e32 v26, v46
	v_lshlrev_b64 v[0:1], 4, v[25:26]
	s_load_dwordx2 s[8:9], s[8:9], 0x10
	v_add_u32_e32 v9, 28, v43
	s_waitcnt lgkmcnt(0)
	v_mov_b32_e32 v2, s5
	v_add_co_u32_e32 v3, vcc, s4, v0
	s_getpc_b64 s[4:5]
	s_add_u32 s4, s4, region_data@rel32@lo+4
	s_addc_u32 s5, s5, region_data@rel32@hi+12
	s_load_dwordx2 s[68:69], s[4:5], 0x0
	s_getpc_b64 s[4:5]
	s_add_u32 s4, s4, ge@rel32@lo+4
	s_addc_u32 s5, s5, ge@rel32@hi+12
	s_load_dwordx2 s[70:71], s[4:5], 0x0
	s_getpc_b64 s[4:5]
	s_add_u32 s4, s4, gmfp@rel32@lo+4
	s_addc_u32 s5, s5, gmfp@rel32@hi+12
	s_load_dwordx2 s[72:73], s[4:5], 0x0
	s_getpc_b64 s[4:5]
	s_add_u32 s4, s4, phantom@rel32@lo+4
	s_addc_u32 s5, s5, phantom@rel32@hi+12
	s_load_dwordx4 s[24:27], s[4:5], 0x0
	s_getpc_b64 s[4:5]
	s_add_u32 s4, s4, cohe@rel32@lo+4
	s_addc_u32 s5, s5, cohe@rel32@hi+12
	s_load_dwordx2 s[74:75], s[4:5], 0x0
	s_getpc_b64 s[4:5]
	s_add_u32 s4, s4, phantom@rel32@lo+20
	s_addc_u32 s5, s5, phantom@rel32@hi+28
	s_load_dwordx4 s[36:39], s[4:5], 0x0
	s_load_dwordx2 s[76:77], s[4:5], 0x10
	s_waitcnt lgkmcnt(0)
	s_mov_b32 s66, s24
	s_lshl_b64 s[4:5], s[66:67], 2
	s_mov_b32 s66, s25
	s_add_u32 s78, s36, s4
	s_addc_u32 s79, s37, s5
	s_add_i32 s4, s24, -1
	v_writelane_b32 v63, s4, 2
	s_lshl_b64 s[4:5], s[66:67], 2
	s_add_u32 s4, s38, s4
	s_addc_u32 s5, s39, s5
	v_writelane_b32 v63, s4, 3
	s_cmp_eq_u32 s25, 1
	v_writelane_b32 v63, s5, 4
	s_cselect_b64 s[4:5], -1, 0
	v_writelane_b32 v63, s4, 5
	s_cmp_lt_i32 s25, 2
	v_writelane_b32 v63, s5, 6
	s_cselect_b64 s[4:5], -1, 0
	v_writelane_b32 v63, s4, 7
	s_mov_b32 s27, s67
	v_addc_co_u32_e32 v4, vcc, v2, v1, vcc
	v_writelane_b32 v63, s5, 8
	s_lshl_b64 s[4:5], s[26:27], 2
	v_mov_b32_e32 v2, s7
	v_add_co_u32_e32 v5, vcc, s6, v0
	s_add_u32 s4, s76, s4
	v_addc_co_u32_e32 v6, vcc, v2, v1, vcc
	s_addc_u32 s5, s77, s5
	v_add_co_u32_e32 v7, vcc, s8, v0
	v_mul_u32_u24_e32 v0, 0x180, v22
	v_writelane_b32 v63, s4, 9
	s_cmp_eq_u32 s26, 1
	v_or_b32_e32 v0, v0, v24
	s_mul_i32 s33, s25, s24
	v_writelane_b32 v63, s5, 10
	s_cselect_b64 s[4:5], -1, 0
	v_add_u32_e32 v57, 0x1940, v0
	v_writelane_b32 v63, s4, 11
	s_cmp_lt_i32 s26, 2
	v_cvt_f32_u32_e32 v0, s33
	v_writelane_b32 v63, s5, 12
	s_cselect_b64 s[4:5], -1, 0
	v_writelane_b32 v63, s4, 13
	v_writelane_b32 v63, s5, 14
	s_add_i32 s4, s25, -1
	s_cmp_eq_u32 s24, 1
	v_rcp_iflag_f32_e32 v0, v0
	v_writelane_b32 v63, s4, 15
	s_cselect_b64 s[4:5], -1, 0
	v_writelane_b32 v63, s4, 16
	s_cmp_lt_i32 s24, 2
	v_writelane_b32 v63, s5, 17
	s_cselect_b64 s[4:5], -1, 0
	v_mov_b32_e32 v2, s9
	v_writelane_b32 v63, s4, 18
	v_mul_f32_e32 v0, 0x4f7ffffe, v0
	v_addc_co_u32_e32 v8, vcc, v2, v1, vcc
	v_writelane_b32 v63, s5, 19
	s_add_i32 s4, s26, -1
	v_cvt_u32_f32_e32 v0, v0
	v_cvt_f32_u32_e32 v1, s24
	v_writelane_b32 v63, s4, 20
	s_getpc_b64 s[4:5]
	s_add_u32 s4, s4, gbr1@rel32@lo+4
	s_addc_u32 s5, s5, gbr1@rel32@hi+12
	s_load_dwordx2 s[96:97], s[4:5], 0x0
	s_getpc_b64 s[4:5]
	s_add_u32 s4, s4, gbr2@rel32@lo+4
	s_addc_u32 s5, s5, gbr2@rel32@hi+12
	s_load_dwordx2 s[98:99], s[4:5], 0x0
	s_sub_i32 s4, 0, s33
	v_mul_lo_u32 v2, s4, v0
	v_rcp_iflag_f32_e32 v1, v1
	s_getpc_b64 s[4:5]
	s_add_u32 s4, s4, source@rel32@lo+4
	s_addc_u32 s5, s5, source@rel32@hi+12
	s_getpc_b64 s[6:7]
	s_add_u32 s6, s6, source@rel32@lo+12
	s_addc_u32 s7, s7, source@rel32@hi+20
	v_mul_hi_u32 v2, v0, v2
	v_mul_f32_e32 v1, 0x4f7ffffe, v1
	v_cvt_u32_f32_e32 v1, v1
	s_load_dword s8, s[4:5], 0x0
	s_load_dwordx4 s[40:43], s[6:7], 0x0
	v_add_u32_e32 v0, v0, v2
	s_sub_i32 s4, 0, s24
	buffer_store_dword v0, off, s[0:3], 0 offset:24 ; 4-byte Folded Spill
	v_mul_lo_u32 v0, s4, v1
	s_getpc_b64 s[4:5]
	s_add_u32 s4, s4, source@rel32@lo+36
	s_addc_u32 s5, s5, source@rel32@hi+44
	s_load_dwordx2 s[88:89], s[6:7], 0x10
	s_load_dwordx4 s[44:47], s[4:5], 0x0
	s_getpc_b64 s[6:7]
	s_add_u32 s6, s6, source@rel32@lo+68
	s_addc_u32 s7, s7, source@rel32@hi+76
	v_mul_hi_u32 v0, v1, v0
	s_load_dwordx2 s[90:91], s[4:5], 0x10
	s_load_dwordx4 s[48:51], s[6:7], 0x0
	s_getpc_b64 s[4:5]
	s_add_u32 s4, s4, detector@rel32@lo+4
	s_addc_u32 s5, s5, detector@rel32@hi+12
	s_getpc_b64 s[6:7]
	s_add_u32 s6, s6, detector@rel32@lo+20
	s_addc_u32 s7, s7, detector@rel32@hi+28
	v_add_u32_e32 v0, v1, v0
	buffer_store_dword v0, off, s[0:3], 0 offset:28 ; 4-byte Folded Spill
	s_waitcnt lgkmcnt(0)
	v_mov_b32_e32 v0, s46
	s_load_dwordx4 s[12:15], s[4:5], 0x0
	s_load_dwordx4 s[56:59], s[6:7], 0x0
	v_sub_f32_e32 v0, s47, v0
	buffer_store_dword v0, off, s[0:3], 0 offset:32 ; 4-byte Folded Spill
	v_mov_b32_e32 v0, 0x4480
	v_lshl_add_u32 v0, v22, 3, v0
	v_mov_b32_e32 v1, v44
	buffer_store_dword v0, off, s[0:3], 0 offset:36 ; 4-byte Folded Spill
	s_nop 0
	buffer_store_dword v1, off, s[0:3], 0 offset:40 ; 4-byte Folded Spill
	s_waitcnt lgkmcnt(0)
	v_cvt_f32_u32_e32 v0, s58
	v_cvt_f32_u32_e32 v1, s59
	buffer_store_dword v9, off, s[0:3], 0 offset:44 ; 4-byte Folded Spill
	s_nop 0
	buffer_store_dword v10, off, s[0:3], 0 offset:48 ; 4-byte Folded Spill
	v_mov_b32_e32 v28, v44
	v_mul_f32_e32 v0, 0.5, v0
	buffer_store_dword v0, off, s[0:3], 0 offset:344 ; 4-byte Folded Spill
	v_mul_f32_e32 v0, 0.5, v1
	buffer_store_dword v0, off, s[0:3], 0 offset:348 ; 4-byte Folded Spill
	v_add_u32_e32 v0, 4, v43
	v_mov_b32_e32 v1, v44
	buffer_store_dword v0, off, s[0:3], 0 offset:304 ; 4-byte Folded Spill
	s_nop 0
	buffer_store_dword v1, off, s[0:3], 0 offset:308 ; 4-byte Folded Spill
	v_add_u32_e32 v0, 16, v43
	v_add_u32_e32 v49, 0x4540, v23
	v_or_b32_e32 v51, 0x4580, v22
	v_or_b32_e32 v55, 0x4500, v23
	s_getpc_b64 s[4:5]
	s_add_u32 s4, s4, pmax@rel32@lo+4
	s_addc_u32 s5, s5, pmax@rel32@hi+12
	s_load_dwordx2 s[4:5], s[4:5], 0x0
	v_writelane_b32 v63, s12, 21
	v_writelane_b32 v63, s13, 22
	;; [unrolled: 1-line block ×4, first 2 shown]
	s_waitcnt lgkmcnt(0)
	v_writelane_b32 v63, s4, 25
	v_writelane_b32 v63, s5, 26
	s_getpc_b64 s[4:5]
	s_add_u32 s4, s4, i_array@rel32@lo+4
	s_addc_u32 s5, s5, i_array@rel32@hi+12
	s_load_dwordx2 s[92:93], s[4:5], 0x0
	s_getpc_b64 s[4:5]
	s_add_u32 s4, s4, rayleigh_data@rel32@lo+4
	s_addc_u32 s5, s5, rayleigh_data@rel32@hi+12
	s_load_dwordx2 s[94:95], s[4:5], 0x0
	v_mov_b32_e32 v50, v44
	v_mov_b32_e32 v52, v44
	v_add_u32_e32 v53, 8, v43
	v_mov_b32_e32 v54, v44
	s_waitcnt lgkmcnt(0)
	s_add_u32 s47, s94, 20
	v_mov_b32_e32 v56, v44
	s_addc_u32 s51, s95, 0
	buffer_store_dword v0, off, s[0:3], 0 offset:312 ; 4-byte Folded Spill
	s_nop 0
	buffer_store_dword v1, off, s[0:3], 0 offset:316 ; 4-byte Folded Spill
	v_add_u32_e32 v0, 20, v43
	s_mov_b32 s66, 0x800000
	s_mov_b32 s27, 0x3f317217
	;; [unrolled: 1-line block ×3, first 2 shown]
	s_movk_i32 s87, 0xc8
	s_mov_b32 s80, 0xf800000
	s_mov_b32 s81, 0x3fb8aa3b
	;; [unrolled: 1-line block ×4, first 2 shown]
	v_mov_b32_e32 v59, 0x7f800000
	buffer_store_dword v0, off, s[0:3], 0 offset:352 ; 4-byte Folded Spill
	s_nop 0
	buffer_store_dword v1, off, s[0:3], 0 offset:356 ; 4-byte Folded Spill
	v_add_u32_e32 v0, 12, v43
	buffer_store_dword v0, off, s[0:3], 0 offset:360 ; 4-byte Folded Spill
	s_nop 0
	buffer_store_dword v1, off, s[0:3], 0 offset:364 ; 4-byte Folded Spill
	v_add_u32_e32 v0, 24, v43
	;; [unrolled: 4-line block ×3, first 2 shown]
	buffer_store_dword v27, off, s[0:3], 0 offset:16 ; 4-byte Folded Spill
	s_nop 0
	buffer_store_dword v28, off, s[0:3], 0 offset:20 ; 4-byte Folded Spill
	buffer_store_dword v0, off, s[0:3], 0 offset:52 ; 4-byte Folded Spill
	s_nop 0
	buffer_store_dword v1, off, s[0:3], 0 offset:56 ; 4-byte Folded Spill
	v_add_u32_e32 v0, 0x3948, v47
	buffer_store_dword v0, off, s[0:3], 0 offset:60 ; 4-byte Folded Spill
	s_nop 0
	buffer_store_dword v1, off, s[0:3], 0 offset:64 ; 4-byte Folded Spill
	v_add_u32_e32 v0, 0x394c, v47
	;; [unrolled: 4-line block ×30, first 2 shown]
	buffer_store_dword v0, off, s[0:3], 0 offset:292 ; 4-byte Folded Spill
	s_nop 0
	buffer_store_dword v1, off, s[0:3], 0 offset:296 ; 4-byte Folded Spill
	buffer_store_dword v3, off, s[0:3], 0 offset:320 ; 4-byte Folded Spill
	s_nop 0
	buffer_store_dword v4, off, s[0:3], 0 offset:324 ; 4-byte Folded Spill
	global_load_dwordx4 v[22:25], v[3:4], off
	s_waitcnt vmcnt(0)
	v_lshrrev_b32_e32 v0, 8, v22
	buffer_store_dword v0, off, s[0:3], 0 offset:12 ; 4-byte Folded Spill
	v_lshrrev_b32_e32 v0, 16, v22
	buffer_store_dword v0, off, s[0:3], 0 offset:8 ; 4-byte Folded Spill
	v_cvt_f32_u32_e32 v0, s8
	v_cndmask_b32_e64 v45, v22, 7, s[20:21]
	v_mov_b32_e32 v22, 0x41b17218
	v_mov_b32_e32 v41, v25
	buffer_store_dword v0, off, s[0:3], 0 offset:300 ; 4-byte Folded Spill
	buffer_store_dword v5, off, s[0:3], 0 offset:328 ; 4-byte Folded Spill
	s_nop 0
	buffer_store_dword v6, off, s[0:3], 0 offset:332 ; 4-byte Folded Spill
	global_load_dwordx4 v[32:35], v[5:6], off
	s_nop 0
	buffer_store_dword v7, off, s[0:3], 0 offset:336 ; 4-byte Folded Spill
	s_nop 0
	buffer_store_dword v8, off, s[0:3], 0 offset:340 ; 4-byte Folded Spill
	global_load_dwordx3 v[26:28], v[7:8], off
	s_waitcnt vmcnt(3)
	v_mov_b32_e32 v58, v33
	s_branch .LBB1_19
.LBB1_18:                               ;   in Loop: Header=BB1_19 Depth=1
	s_andn2_b64 vcc, exec, s[82:83]
	s_cbranch_vccz .LBB1_396
.LBB1_19:                               ; =>This Loop Header: Depth=1
                                        ;     Child Loop BB1_80 Depth 2
                                        ;     Child Loop BB1_87 Depth 2
	;; [unrolled: 1-line block ×20, first 2 shown]
                                        ;       Child Loop BB1_350 Depth 3
                                        ;         Child Loop BB1_359 Depth 4
	s_and_saveexec_b64 s[4:5], s[18:19]
	s_cbranch_execz .LBB1_21
; %bb.20:                               ;   in Loop: Header=BB1_19 Depth=1
	flat_load_dword v0, v[49:50] glc
	s_waitcnt vmcnt(0) lgkmcnt(0)
	v_add_u32_e32 v0, 1, v0
	flat_store_dword v[49:50], v0
	s_waitcnt vmcnt(0)
.LBB1_21:                               ;   in Loop: Header=BB1_19 Depth=1
	s_or_b64 exec, exec, s[4:5]
	v_mov_b32_e32 v0, 8
	v_cmp_ne_u16_sdwa s[4:5], v45, v0 src0_sel:BYTE_0 src1_sel:DWORD
	s_or_b64 vcc, s[64:65], s[4:5]
	v_cndmask_b32_e32 v45, 7, v45, vcc
	v_cmp_eq_u16_sdwa s[20:21], v45, v48 src0_sel:BYTE_0 src1_sel:DWORD
	s_mov_b64 vcc, s[20:21]
	s_cbranch_vccz .LBB1_173
; %bb.22:                               ;   in Loop: Header=BB1_19 Depth=1
	v_mov_b32_e32 v42, v46
	v_lshlrev_b64 v[0:1], 4, v[41:42]
	v_mov_b32_e32 v2, s69
	v_add_co_u32_e32 v0, vcc, s68, v0
	v_addc_co_u32_e32 v1, vcc, v2, v1, vcc
	global_load_dwordx3 v[36:38], v[0:1], off
	s_and_saveexec_b64 s[4:5], s[20:21]
	s_cbranch_execz .LBB1_28
; %bb.23:                               ;   in Loop: Header=BB1_19 Depth=1
	s_waitcnt vmcnt(0)
	v_cmp_nle_f32_e32 vcc, v23, v38
	v_mov_b32_e32 v45, 0
	s_and_saveexec_b64 s[6:7], vcc
	s_cbranch_execz .LBB1_27
; %bb.24:                               ;   in Loop: Header=BB1_19 Depth=1
	v_cmp_ge_f32_e32 vcc, 0, v24
	v_mov_b32_e32 v45, 2
	s_and_saveexec_b64 s[8:9], vcc
; %bb.25:                               ;   in Loop: Header=BB1_19 Depth=1
	v_mov_b32_e32 v45, 1
; %bb.26:                               ;   in Loop: Header=BB1_19 Depth=1
	s_or_b64 exec, exec, s[8:9]
.LBB1_27:                               ;   in Loop: Header=BB1_19 Depth=1
	s_or_b64 exec, exec, s[6:7]
.LBB1_28:                               ;   in Loop: Header=BB1_19 Depth=1
	s_or_b64 exec, exec, s[4:5]
	flat_load_ubyte v0, v[51:52] glc
	s_waitcnt vmcnt(0) lgkmcnt(0)
	v_cmp_lt_u32_e32 vcc, 1, v0
	v_add_u32_e32 v0, 1, v0
	s_and_saveexec_b64 s[22:23], vcc
	s_cbranch_execz .LBB1_30
; %bb.29:                               ;   in Loop: Header=BB1_19 Depth=1
	s_add_u32 s8, s16, 8
	s_addc_u32 s9, s17, 0
	s_getpc_b64 s[4:5]
	s_add_u32 s4, s4, _Z17MT_generate_arrayv@rel32@lo+4
	s_addc_u32 s5, s5, _Z17MT_generate_arrayv@rel32@hi+12
	s_swappc_b64 s[30:31], s[4:5]
	v_mov_b32_e32 v0, 0
.LBB1_30:                               ;   in Loop: Header=BB1_19 Depth=1
	s_or_b64 exec, exec, s[22:23]
	s_and_saveexec_b64 s[4:5], s[18:19]
	s_cbranch_execz .LBB1_32
; %bb.31:                               ;   in Loop: Header=BB1_19 Depth=1
	flat_store_byte v[51:52], v0
	s_waitcnt vmcnt(0)
.LBB1_32:                               ;   in Loop: Header=BB1_19 Depth=1
	s_or_b64 exec, exec, s[4:5]
	v_lshl_add_u32 v0, v0, 7, v57
	ds_read_b32 v0, v0
	v_lshrrev_b32_e32 v33, 16, v36
	v_mov_b32_e32 v25, 0
	v_mov_b32_e32 v30, v36
	;; [unrolled: 1-line block ×3, first 2 shown]
	s_waitcnt lgkmcnt(0)
	v_cmp_gt_f32_e32 vcc, s66, v0
	v_cndmask_b32_e64 v1, 0, 32, vcc
	v_ldexp_f32 v0, v0, v1
	v_log_f32_e32 v0, v0
	v_mul_f32_e32 v1, 0x3f317217, v0
	v_fma_f32 v1, v0, s27, -v1
	v_fmac_f32_e32 v1, 0x3377d1cf, v0
	v_fmac_f32_e32 v1, 0x3f317217, v0
	v_cmp_lt_f32_e64 s[4:5], |v0|, s86
	v_cndmask_b32_e64 v0, v0, v1, s[4:5]
	v_cndmask_b32_e32 v1, 0, v22, vcc
	v_cmp_gt_f32_e32 vcc, s66, v23
	v_sub_f32_e32 v6, v0, v1
	v_cndmask_b32_e64 v0, 0, 32, vcc
	v_ldexp_f32 v0, v23, v0
	v_log_f32_e32 v0, v0
	v_xor_b32_e32 v5, 0x80000000, v6
	v_mul_f32_e32 v1, 0x3f317217, v0
	v_fma_f32 v1, v0, s27, -v1
	v_fmac_f32_e32 v1, 0x3377d1cf, v0
	v_fmac_f32_e32 v1, 0x3f317217, v0
	v_cmp_lt_f32_e64 s[4:5], |v0|, s86
	v_cndmask_b32_e64 v0, v0, v1, s[4:5]
	v_cndmask_b32_e32 v1, 0, v22, vcc
	v_cmp_eq_u16_sdwa s[4:5], v45, v48 src0_sel:BYTE_0 src1_sel:DWORD
	v_sub_f32_e32 v42, v0, v1
	s_and_b64 s[4:5], s[20:21], s[4:5]
	s_and_saveexec_b64 s[10:11], s[4:5]
	s_cbranch_execz .LBB1_156
; %bb.33:                               ;   in Loop: Header=BB1_19 Depth=1
	v_cmp_eq_u16_e64 s[4:5], -1, v36
	v_cmp_ne_u16_e64 s[6:7], -1, v36
	v_mov_b32_e32 v8, 0x4cbebc20
	v_mov_b32_e32 v7, 0
	;; [unrolled: 1-line block ×4, first 2 shown]
	s_and_saveexec_b64 s[8:9], s[6:7]
	s_cbranch_execz .LBB1_37
; %bb.34:                               ;   in Loop: Header=BB1_19 Depth=1
	v_and_b32_e32 v2, 0xffff, v36
	v_lshlrev_b32_e32 v0, 3, v2
	global_load_dwordx2 v[0:1], v0, s[70:71]
	v_mov_b32_e32 v3, s73
	v_mov_b32_e32 v29, 0
	s_waitcnt vmcnt(0)
	v_fmac_f32_e32 v0, v42, v1
	v_cvt_i32_f32_e32 v25, v0
	v_mad_u32_u24 v0, v2, s87, v25
	v_ashrrev_i32_e32 v1, 31, v0
	v_lshlrev_b64 v[0:1], 3, v[0:1]
	v_add_co_u32_e32 v2, vcc, s72, v0
	v_addc_co_u32_e32 v3, vcc, v3, v1, vcc
	global_load_dwordx2 v[2:3], v[2:3], off
	s_waitcnt vmcnt(0)
	v_fmac_f32_e32 v2, v42, v3
	v_div_scale_f32 v3, s[12:13], v37, v37, v2
	v_div_scale_f32 v4, vcc, v2, v37, v2
	v_rcp_f32_e32 v7, v3
	v_fma_f32 v8, -v3, v7, 1.0
	v_fmac_f32_e32 v7, v8, v7
	v_mul_f32_e32 v8, v4, v7
	v_fma_f32 v9, -v3, v8, v4
	v_fmac_f32_e32 v8, v9, v7
	v_fma_f32 v3, -v3, v8, v4
	v_div_fmas_f32 v3, v3, v7, v8
	v_and_b32_e32 v4, 1, v33
	v_cmp_eq_u32_e32 vcc, 1, v4
	v_div_fixup_f32 v7, v3, v37, v2
	s_and_saveexec_b64 s[12:13], vcc
	s_cbranch_execz .LBB1_36
; %bb.35:                               ;   in Loop: Header=BB1_19 Depth=1
	v_mov_b32_e32 v2, s75
	v_add_co_u32_e32 v0, vcc, s74, v0
	v_addc_co_u32_e32 v1, vcc, v2, v1, vcc
	global_load_dwordx2 v[29:30], v[0:1], off
	s_waitcnt vmcnt(0)
	v_fmac_f32_e32 v29, v42, v30
	v_mul_f32_e32 v7, v7, v29
.LBB1_36:                               ;   in Loop: Header=BB1_19 Depth=1
	s_or_b64 exec, exec, s[12:13]
	v_mul_f32_e64 v8, v7, -v6
.LBB1_37:                               ;   in Loop: Header=BB1_19 Depth=1
	s_or_b64 exec, exec, s[8:9]
	v_cmp_ne_u32_e32 vcc, 0, v41
                                        ; implicit-def: $vgpr0
	s_and_saveexec_b64 s[8:9], vcc
	s_xor_b64 s[8:9], exec, s[8:9]
	s_cbranch_execz .LBB1_69
; %bb.38:                               ;   in Loop: Header=BB1_19 Depth=1
	buffer_load_dword v0, off, s[0:3], 0 offset:24 ; 4-byte Folded Reload
	v_add_u32_e32 v9, -1, v41
	s_waitcnt vmcnt(0)
	v_mul_hi_u32 v0, v9, v0
	v_mul_lo_u32 v1, v0, s33
	v_add_u32_e32 v2, 1, v0
	v_sub_u32_e32 v1, v9, v1
	v_cmp_le_u32_e32 vcc, s33, v1
	v_cndmask_b32_e32 v0, v0, v2, vcc
	v_subrev_u32_e32 v2, s33, v1
	v_cndmask_b32_e32 v1, v1, v2, vcc
	v_add_u32_e32 v2, 1, v0
	v_cmp_le_u32_e32 vcc, s33, v1
	v_cndmask_b32_e32 v1, v0, v2, vcc
	buffer_load_dword v2, off, s[0:3], 0 offset:28 ; 4-byte Folded Reload
	v_mul_lo_u32 v0, s33, v1
	v_sub_u32_e32 v0, v9, v0
	s_waitcnt vmcnt(0)
	v_mul_hi_u32 v2, v0, v2
	v_mul_lo_u32 v3, v2, s24
	v_add_u32_e32 v4, 1, v2
	v_sub_u32_e32 v3, v0, v3
	v_cmp_le_u32_e32 vcc, s24, v3
	v_cndmask_b32_e32 v2, v2, v4, vcc
	v_subrev_u32_e32 v4, s24, v3
	v_cndmask_b32_e32 v3, v3, v4, vcc
	v_add_u32_e32 v4, 1, v2
	v_cmp_le_u32_e32 vcc, s24, v3
	v_cndmask_b32_e32 v2, v2, v4, vcc
	v_mul_lo_u32 v3, v2, s24
	v_cmp_nlt_f32_e32 vcc, 0, v26
	v_sub_u32_e32 v3, v0, v3
                                        ; implicit-def: $vgpr0
	s_and_saveexec_b64 s[12:13], vcc
	s_xor_b64 s[12:13], exec, s[12:13]
	s_cbranch_execz .LBB1_44
; %bb.39:                               ;   in Loop: Header=BB1_19 Depth=1
	v_cmp_gt_f32_e32 vcc, 0, v26
	v_mov_b32_e32 v0, v41
	s_and_saveexec_b64 s[14:15], vcc
	s_cbranch_execz .LBB1_43
; %bb.40:                               ;   in Loop: Header=BB1_19 Depth=1
	v_ashrrev_i32_e32 v4, 31, v3
	v_lshlrev_b64 v[10:11], 2, v[3:4]
	v_mov_b32_e32 v0, s37
	v_add_co_u32_e32 v10, vcc, s36, v10
	v_addc_co_u32_e32 v11, vcc, v0, v11, vcc
	global_load_dword v0, v[10:11], off
	s_waitcnt vmcnt(0)
	v_sub_f32_e32 v0, v0, v58
	v_div_scale_f32 v4, s[22:23], v26, v26, v0
	v_div_scale_f32 v10, vcc, v0, v26, v0
	v_rcp_f32_e32 v11, v4
	v_fma_f32 v12, -v4, v11, 1.0
	v_fmac_f32_e32 v11, v12, v11
	v_mul_f32_e32 v12, v10, v11
	v_fma_f32 v13, -v4, v12, v10
	v_fmac_f32_e32 v12, v13, v11
	v_fma_f32 v4, -v4, v12, v10
	v_div_fmas_f32 v4, v4, v11, v12
	v_div_fixup_f32 v4, v4, v26, v0
	v_cmp_le_f32_e32 vcc, v4, v8
	v_mov_b32_e32 v0, v41
	s_and_saveexec_b64 s[22:23], vcc
; %bb.41:                               ;   in Loop: Header=BB1_19 Depth=1
	v_cmp_lt_i32_e32 vcc, 0, v3
	v_cndmask_b32_e32 v0, 0, v9, vcc
	v_mov_b32_e32 v8, v4
; %bb.42:                               ;   in Loop: Header=BB1_19 Depth=1
	s_or_b64 exec, exec, s[22:23]
.LBB1_43:                               ;   in Loop: Header=BB1_19 Depth=1
	s_or_b64 exec, exec, s[14:15]
                                        ; implicit-def: $vgpr3
.LBB1_44:                               ;   in Loop: Header=BB1_19 Depth=1
	s_andn2_saveexec_b64 s[12:13], s[12:13]
	s_cbranch_execz .LBB1_48
; %bb.45:                               ;   in Loop: Header=BB1_19 Depth=1
	v_ashrrev_i32_e32 v4, 31, v3
	v_lshlrev_b64 v[9:10], 2, v[3:4]
	v_mov_b32_e32 v0, s37
	v_add_co_u32_e32 v9, vcc, s36, v9
	v_addc_co_u32_e32 v10, vcc, v0, v10, vcc
	global_load_dword v0, v[9:10], off offset:4
	s_waitcnt vmcnt(0)
	v_sub_f32_e32 v0, v0, v58
	v_div_scale_f32 v4, s[14:15], v26, v26, v0
	v_div_scale_f32 v9, vcc, v0, v26, v0
	v_rcp_f32_e32 v10, v4
	v_fma_f32 v11, -v4, v10, 1.0
	v_fmac_f32_e32 v10, v11, v10
	v_mul_f32_e32 v11, v9, v10
	v_fma_f32 v12, -v4, v11, v9
	v_fmac_f32_e32 v11, v12, v10
	v_fma_f32 v4, -v4, v11, v9
	v_div_fmas_f32 v4, v4, v10, v11
	v_div_fixup_f32 v4, v4, v26, v0
	v_cmp_le_f32_e32 vcc, v4, v8
	v_mov_b32_e32 v0, v41
	s_and_saveexec_b64 s[14:15], vcc
; %bb.46:                               ;   in Loop: Header=BB1_19 Depth=1
	v_add_u32_e32 v0, 1, v3
	v_add_u32_e32 v3, 1, v41
	v_cmp_gt_u32_e32 vcc, s24, v0
	v_cndmask_b32_e32 v0, 0, v3, vcc
	v_mov_b32_e32 v8, v4
; %bb.47:                               ;   in Loop: Header=BB1_19 Depth=1
	s_or_b64 exec, exec, s[14:15]
.LBB1_48:                               ;   in Loop: Header=BB1_19 Depth=1
	s_or_b64 exec, exec, s[12:13]
	v_cmp_nlt_f32_e32 vcc, 0, v27
	s_and_saveexec_b64 s[12:13], vcc
	s_xor_b64 s[12:13], exec, s[12:13]
	s_cbranch_execz .LBB1_54
; %bb.49:                               ;   in Loop: Header=BB1_19 Depth=1
	v_cmp_gt_f32_e32 vcc, 0, v27
	s_and_saveexec_b64 s[14:15], vcc
	s_cbranch_execz .LBB1_53
; %bb.50:                               ;   in Loop: Header=BB1_19 Depth=1
	v_ashrrev_i32_e32 v3, 31, v2
	v_lshlrev_b64 v[3:4], 2, v[2:3]
	v_mov_b32_e32 v9, s39
	v_add_co_u32_e32 v3, vcc, s38, v3
	v_addc_co_u32_e32 v4, vcc, v9, v4, vcc
	global_load_dword v3, v[3:4], off
	s_waitcnt vmcnt(0)
	v_sub_f32_e32 v3, v3, v34
	v_div_scale_f32 v4, s[22:23], v27, v27, v3
	v_div_scale_f32 v9, vcc, v3, v27, v3
	v_rcp_f32_e32 v10, v4
	v_fma_f32 v11, -v4, v10, 1.0
	v_fmac_f32_e32 v10, v11, v10
	v_mul_f32_e32 v11, v9, v10
	v_fma_f32 v12, -v4, v11, v9
	v_fmac_f32_e32 v11, v12, v10
	v_fma_f32 v4, -v4, v11, v9
	v_div_fmas_f32 v4, v4, v10, v11
	v_div_fixup_f32 v3, v4, v27, v3
	v_cmp_le_f32_e32 vcc, v3, v8
	s_and_saveexec_b64 s[22:23], vcc
; %bb.51:                               ;   in Loop: Header=BB1_19 Depth=1
	v_subrev_u32_e32 v0, s24, v41
	v_cmp_lt_i32_e32 vcc, 0, v2
	v_cndmask_b32_e32 v0, 0, v0, vcc
	v_mov_b32_e32 v8, v3
; %bb.52:                               ;   in Loop: Header=BB1_19 Depth=1
	s_or_b64 exec, exec, s[22:23]
.LBB1_53:                               ;   in Loop: Header=BB1_19 Depth=1
	s_or_b64 exec, exec, s[14:15]
                                        ; implicit-def: $vgpr2
.LBB1_54:                               ;   in Loop: Header=BB1_19 Depth=1
	s_andn2_saveexec_b64 s[12:13], s[12:13]
	s_cbranch_execz .LBB1_58
; %bb.55:                               ;   in Loop: Header=BB1_19 Depth=1
	v_ashrrev_i32_e32 v3, 31, v2
	v_lshlrev_b64 v[3:4], 2, v[2:3]
	v_mov_b32_e32 v9, s39
	v_add_co_u32_e32 v3, vcc, s38, v3
	v_addc_co_u32_e32 v4, vcc, v9, v4, vcc
	global_load_dword v3, v[3:4], off offset:4
	s_waitcnt vmcnt(0)
	v_sub_f32_e32 v3, v3, v34
	v_div_scale_f32 v4, s[14:15], v27, v27, v3
	v_div_scale_f32 v9, vcc, v3, v27, v3
	v_rcp_f32_e32 v10, v4
	v_fma_f32 v11, -v4, v10, 1.0
	v_fmac_f32_e32 v10, v11, v10
	v_mul_f32_e32 v11, v9, v10
	v_fma_f32 v12, -v4, v11, v9
	v_fmac_f32_e32 v11, v12, v10
	v_fma_f32 v4, -v4, v11, v9
	v_div_fmas_f32 v4, v4, v10, v11
	v_div_fixup_f32 v3, v4, v27, v3
	v_cmp_le_f32_e32 vcc, v3, v8
	s_and_saveexec_b64 s[14:15], vcc
; %bb.56:                               ;   in Loop: Header=BB1_19 Depth=1
	v_add_u32_e32 v0, 1, v2
	v_add_u32_e32 v2, s24, v41
	v_cmp_gt_u32_e32 vcc, s25, v0
	v_cndmask_b32_e32 v0, 0, v2, vcc
	v_mov_b32_e32 v8, v3
; %bb.57:                               ;   in Loop: Header=BB1_19 Depth=1
	s_or_b64 exec, exec, s[14:15]
.LBB1_58:                               ;   in Loop: Header=BB1_19 Depth=1
	s_or_b64 exec, exec, s[12:13]
	v_cmp_nlt_f32_e32 vcc, 0, v28
	s_and_saveexec_b64 s[12:13], vcc
	s_xor_b64 s[12:13], exec, s[12:13]
	s_cbranch_execz .LBB1_64
; %bb.59:                               ;   in Loop: Header=BB1_19 Depth=1
	v_cmp_gt_f32_e32 vcc, 0, v28
	s_and_saveexec_b64 s[14:15], vcc
	s_cbranch_execz .LBB1_63
; %bb.60:                               ;   in Loop: Header=BB1_19 Depth=1
	v_ashrrev_i32_e32 v2, 31, v1
	v_lshlrev_b64 v[2:3], 2, v[1:2]
	v_mov_b32_e32 v4, s77
	v_add_co_u32_e32 v2, vcc, s76, v2
	v_addc_co_u32_e32 v3, vcc, v4, v3, vcc
	global_load_dword v2, v[2:3], off
	s_waitcnt vmcnt(0)
	v_sub_f32_e32 v2, v2, v35
	v_div_scale_f32 v3, s[22:23], v28, v28, v2
	v_div_scale_f32 v4, vcc, v2, v28, v2
	v_rcp_f32_e32 v9, v3
	v_fma_f32 v10, -v3, v9, 1.0
	v_fmac_f32_e32 v9, v10, v9
	v_mul_f32_e32 v10, v4, v9
	v_fma_f32 v11, -v3, v10, v4
	v_fmac_f32_e32 v10, v11, v9
	v_fma_f32 v3, -v3, v10, v4
	v_div_fmas_f32 v3, v3, v9, v10
	v_div_fixup_f32 v2, v3, v28, v2
	v_cmp_le_f32_e32 vcc, v2, v8
	s_and_saveexec_b64 s[22:23], vcc
; %bb.61:                               ;   in Loop: Header=BB1_19 Depth=1
	v_subrev_u32_e32 v0, s33, v41
	v_cmp_lt_i32_e32 vcc, 0, v1
	v_cndmask_b32_e32 v0, 0, v0, vcc
	v_mov_b32_e32 v8, v2
; %bb.62:                               ;   in Loop: Header=BB1_19 Depth=1
	s_or_b64 exec, exec, s[22:23]
.LBB1_63:                               ;   in Loop: Header=BB1_19 Depth=1
	s_or_b64 exec, exec, s[14:15]
                                        ; implicit-def: $vgpr1
.LBB1_64:                               ;   in Loop: Header=BB1_19 Depth=1
	s_andn2_saveexec_b64 s[12:13], s[12:13]
	s_cbranch_execz .LBB1_68
; %bb.65:                               ;   in Loop: Header=BB1_19 Depth=1
	v_ashrrev_i32_e32 v2, 31, v1
	v_lshlrev_b64 v[2:3], 2, v[1:2]
	v_mov_b32_e32 v4, s77
	v_add_co_u32_e32 v2, vcc, s76, v2
	v_addc_co_u32_e32 v3, vcc, v4, v3, vcc
	global_load_dword v2, v[2:3], off offset:4
	s_waitcnt vmcnt(0)
	v_sub_f32_e32 v2, v2, v35
	v_div_scale_f32 v3, s[14:15], v28, v28, v2
	v_div_scale_f32 v4, vcc, v2, v28, v2
	v_rcp_f32_e32 v9, v3
	v_fma_f32 v10, -v3, v9, 1.0
	v_fmac_f32_e32 v9, v10, v9
	v_mul_f32_e32 v10, v4, v9
	v_fma_f32 v11, -v3, v10, v4
	v_fmac_f32_e32 v10, v11, v9
	v_fma_f32 v3, -v3, v10, v4
	v_div_fmas_f32 v3, v3, v9, v10
	v_div_fixup_f32 v2, v3, v28, v2
	v_cmp_le_f32_e32 vcc, v2, v8
	s_and_saveexec_b64 s[14:15], vcc
; %bb.66:                               ;   in Loop: Header=BB1_19 Depth=1
	v_add_u32_e32 v0, 1, v1
	v_add_u32_e32 v1, s33, v41
	v_cmp_gt_u32_e32 vcc, s26, v0
	v_cndmask_b32_e32 v0, 0, v1, vcc
	v_mov_b32_e32 v8, v2
; %bb.67:                               ;   in Loop: Header=BB1_19 Depth=1
	s_or_b64 exec, exec, s[14:15]
.LBB1_68:                               ;   in Loop: Header=BB1_19 Depth=1
	s_or_b64 exec, exec, s[12:13]
.LBB1_69:                               ;   in Loop: Header=BB1_19 Depth=1
	s_andn2_saveexec_b64 s[12:13], s[8:9]
	s_cbranch_execz .LBB1_147
; %bb.70:                               ;   in Loop: Header=BB1_19 Depth=1
	global_load_dword v3, v46, s[36:37]
	v_cmp_nlt_f32_e64 s[8:9], 0, v26
                                        ; implicit-def: $vgpr9
                                        ; implicit-def: $vgpr2
	s_waitcnt vmcnt(0)
	v_cmp_nle_f32_e32 vcc, v58, v3
	s_or_b64 s[8:9], vcc, s[8:9]
	s_and_saveexec_b64 s[14:15], s[8:9]
	s_xor_b64 s[14:15], exec, s[14:15]
	s_cbranch_execz .LBB1_74
; %bb.71:                               ;   in Loop: Header=BB1_19 Depth=1
	global_load_dword v0, v46, s[78:79]
	v_cmp_gt_f32_e32 vcc, 0, v26
	v_mov_b32_e32 v9, -1
                                        ; implicit-def: $vgpr2
	s_waitcnt vmcnt(0)
	v_cmp_ge_f32_e64 s[8:9], v58, v0
	s_and_b64 s[22:23], s[8:9], vcc
	s_and_saveexec_b64 s[8:9], s[22:23]
	s_cbranch_execz .LBB1_73
; %bb.72:                               ;   in Loop: Header=BB1_19 Depth=1
	v_sub_f32_e32 v0, v0, v58
	v_div_scale_f32 v1, s[22:23], v26, v26, v0
	v_div_scale_f32 v2, vcc, v0, v26, v0
	v_readlane_b32 s22, v63, 2
	v_rcp_f32_e32 v4, v1
	v_fma_f32 v9, -v1, v4, 1.0
	v_fmac_f32_e32 v4, v9, v4
	v_mul_f32_e32 v9, v2, v4
	v_fma_f32 v10, -v1, v9, v2
	v_fmac_f32_e32 v9, v10, v4
	v_fma_f32 v1, -v1, v9, v2
	v_div_fmas_f32 v1, v1, v4, v9
	v_mov_b32_e32 v9, s22
	v_div_fixup_f32 v2, v1, v26, v0
.LBB1_73:                               ;   in Loop: Header=BB1_19 Depth=1
	s_or_b64 exec, exec, s[8:9]
.LBB1_74:                               ;   in Loop: Header=BB1_19 Depth=1
	s_andn2_saveexec_b64 s[8:9], s[14:15]
	s_cbranch_execz .LBB1_76
; %bb.75:                               ;   in Loop: Header=BB1_19 Depth=1
	v_sub_f32_e32 v0, v3, v58
	v_div_scale_f32 v1, s[14:15], v26, v26, v0
	v_div_scale_f32 v2, vcc, v0, v26, v0
	v_rcp_f32_e32 v4, v1
	v_fma_f32 v9, -v1, v4, 1.0
	v_fmac_f32_e32 v4, v9, v4
	v_mul_f32_e32 v9, v2, v4
	v_fma_f32 v10, -v1, v9, v2
	v_fmac_f32_e32 v9, v10, v4
	v_fma_f32 v1, -v1, v9, v2
	v_div_fmas_f32 v1, v1, v4, v9
	v_mov_b32_e32 v9, 0
	v_div_fixup_f32 v2, v1, v26, v0
.LBB1_76:                               ;   in Loop: Header=BB1_19 Depth=1
	s_or_b64 exec, exec, s[8:9]
	global_load_dword v4, v46, s[38:39]
	v_cmp_lt_i32_e32 vcc, -1, v9
	v_cmp_le_f32_e64 s[8:9], v2, v8
	s_and_b64 s[14:15], vcc, s[8:9]
	s_mov_b64 s[22:23], -1
                                        ; implicit-def: $vgpr0
	s_and_saveexec_b64 s[8:9], s[14:15]
	s_cbranch_execz .LBB1_94
; %bb.77:                               ;   in Loop: Header=BB1_19 Depth=1
	v_fma_f32 v0, v27, v2, v34
	s_waitcnt vmcnt(0)
	v_cmp_nlt_f32_e32 vcc, v0, v4
	v_mov_b32_e32 v1, -1
	s_and_saveexec_b64 s[14:15], vcc
	s_cbranch_execz .LBB1_83
; %bb.78:                               ;   in Loop: Header=BB1_19 Depth=1
	v_readlane_b32 s22, v63, 3
	v_readlane_b32 s23, v63, 4
	s_nop 4
	global_load_dword v1, v46, s[22:23]
	v_readlane_b32 s22, v63, 15
	v_mov_b32_e32 v10, s22
	v_readlane_b32 s22, v63, 7
	v_readlane_b32 s23, v63, 8
	s_waitcnt vmcnt(0)
	v_cmp_gt_f32_e32 vcc, v0, v1
	s_nor_b64 s[30:31], vcc, s[22:23]
	v_readlane_b32 s22, v63, 5
	v_readlane_b32 s23, v63, 6
	v_cndmask_b32_e64 v1, 0, -1, vcc
	s_or_b64 vcc, vcc, s[22:23]
	v_cndmask_b32_e32 v1, v10, v1, vcc
	s_and_saveexec_b64 s[22:23], s[30:31]
	s_cbranch_execz .LBB1_82
; %bb.79:                               ;   in Loop: Header=BB1_19 Depth=1
	v_mov_b32_e32 v10, 0
	s_mov_b64 s[30:31], 0
	v_mov_b32_e32 v1, s25
.LBB1_80:                               ;   Parent Loop BB1_19 Depth=1
                                        ; =>  This Inner Loop Header: Depth=2
	v_add_u32_e32 v11, v10, v1
	v_lshrrev_b32_e32 v45, 1, v11
	v_lshlrev_b64 v[11:12], 2, v[45:46]
	v_mov_b32_e32 v13, s39
	v_add_co_u32_e32 v11, vcc, s38, v11
	v_addc_co_u32_e32 v12, vcc, v13, v12, vcc
	global_load_dword v11, v[11:12], off
	s_waitcnt vmcnt(0)
	v_cmp_nle_f32_e32 vcc, v0, v11
	v_cndmask_b32_e32 v10, v10, v45, vcc
	v_cndmask_b32_e32 v1, v45, v1, vcc
	v_sub_u32_e32 v11, v1, v10
	v_cmp_gt_i32_e32 vcc, 2, v11
	s_or_b64 s[30:31], vcc, s[30:31]
	s_andn2_b64 exec, exec, s[30:31]
	s_cbranch_execnz .LBB1_80
; %bb.81:                               ;   in Loop: Header=BB1_19 Depth=1
	s_or_b64 exec, exec, s[30:31]
	v_add_u32_e32 v1, -1, v1
.LBB1_82:                               ;   in Loop: Header=BB1_19 Depth=1
	s_or_b64 exec, exec, s[22:23]
.LBB1_83:                               ;   in Loop: Header=BB1_19 Depth=1
	s_or_b64 exec, exec, s[14:15]
	v_cmp_lt_i32_e32 vcc, -1, v1
	s_mov_b64 s[22:23], -1
                                        ; implicit-def: $vgpr0
	s_and_saveexec_b64 s[14:15], vcc
	s_cbranch_execz .LBB1_93
; %bb.84:                               ;   in Loop: Header=BB1_19 Depth=1
	global_load_dword v10, v46, s[76:77]
	v_fma_f32 v0, v28, v2, v35
	s_waitcnt vmcnt(0)
	v_cmp_nlt_f32_e32 vcc, v0, v10
	v_mov_b32_e32 v10, -1
	s_and_saveexec_b64 s[22:23], vcc
	s_cbranch_execz .LBB1_90
; %bb.85:                               ;   in Loop: Header=BB1_19 Depth=1
	v_readlane_b32 s30, v63, 9
	v_readlane_b32 s31, v63, 10
	s_nop 4
	global_load_dword v10, v46, s[30:31]
	v_readlane_b32 s30, v63, 20
	v_mov_b32_e32 v11, s30
	v_readlane_b32 s30, v63, 13
	v_readlane_b32 s31, v63, 14
	s_waitcnt vmcnt(0)
	v_cmp_gt_f32_e32 vcc, v0, v10
	s_nor_b64 s[52:53], vcc, s[30:31]
	v_readlane_b32 s30, v63, 11
	v_readlane_b32 s31, v63, 12
	v_cndmask_b32_e64 v10, 0, -1, vcc
	s_or_b64 vcc, vcc, s[30:31]
	v_cndmask_b32_e32 v10, v11, v10, vcc
	s_and_saveexec_b64 s[30:31], s[52:53]
	s_cbranch_execz .LBB1_89
; %bb.86:                               ;   in Loop: Header=BB1_19 Depth=1
	v_mov_b32_e32 v11, 0
	s_mov_b64 s[52:53], 0
	v_mov_b32_e32 v10, s26
.LBB1_87:                               ;   Parent Loop BB1_19 Depth=1
                                        ; =>  This Inner Loop Header: Depth=2
	v_add_u32_e32 v12, v11, v10
	v_lshrrev_b32_e32 v45, 1, v12
	v_lshlrev_b64 v[12:13], 2, v[45:46]
	v_mov_b32_e32 v14, s77
	v_add_co_u32_e32 v12, vcc, s76, v12
	v_addc_co_u32_e32 v13, vcc, v14, v13, vcc
	global_load_dword v12, v[12:13], off
	s_waitcnt vmcnt(0)
	v_cmp_nle_f32_e32 vcc, v0, v12
	v_cndmask_b32_e32 v11, v11, v45, vcc
	v_cndmask_b32_e32 v10, v45, v10, vcc
	v_sub_u32_e32 v12, v10, v11
	v_cmp_gt_i32_e32 vcc, 2, v12
	s_or_b64 s[52:53], vcc, s[52:53]
	s_andn2_b64 exec, exec, s[52:53]
	s_cbranch_execnz .LBB1_87
; %bb.88:                               ;   in Loop: Header=BB1_19 Depth=1
	s_or_b64 exec, exec, s[52:53]
	v_add_u32_e32 v10, -1, v10
.LBB1_89:                               ;   in Loop: Header=BB1_19 Depth=1
	s_or_b64 exec, exec, s[30:31]
.LBB1_90:                               ;   in Loop: Header=BB1_19 Depth=1
	s_or_b64 exec, exec, s[22:23]
	v_cmp_lt_i32_e32 vcc, -1, v10
	s_mov_b64 s[22:23], -1
                                        ; implicit-def: $vgpr0
	s_and_saveexec_b64 s[30:31], vcc
	s_cbranch_execz .LBB1_92
; %bb.91:                               ;   in Loop: Header=BB1_19 Depth=1
	v_mad_u64_u32 v[0:1], s[22:23], v10, s25, v[1:2]
	s_xor_b64 s[22:23], exec, -1
	v_mov_b32_e32 v8, v2
	v_mul_lo_u32 v0, s24, v0
	v_add3_u32 v0, v9, v0, 1
.LBB1_92:                               ;   in Loop: Header=BB1_19 Depth=1
	s_or_b64 exec, exec, s[30:31]
	s_orn2_b64 s[22:23], s[22:23], exec
.LBB1_93:                               ;   in Loop: Header=BB1_19 Depth=1
	s_or_b64 exec, exec, s[14:15]
	s_orn2_b64 s[22:23], s[22:23], exec
.LBB1_94:                               ;   in Loop: Header=BB1_19 Depth=1
	s_or_b64 exec, exec, s[8:9]
	s_and_saveexec_b64 s[14:15], s[22:23]
	s_cbranch_execz .LBB1_146
; %bb.95:                               ;   in Loop: Header=BB1_19 Depth=1
	s_waitcnt vmcnt(0)
	v_cmp_nle_f32_e32 vcc, v34, v4
	v_cmp_nlt_f32_e64 s[8:9], 0, v27
	s_or_b64 s[8:9], vcc, s[8:9]
                                        ; implicit-def: $vgpr1
	s_and_saveexec_b64 s[22:23], s[8:9]
	s_xor_b64 s[22:23], exec, s[22:23]
	s_cbranch_execz .LBB1_99
; %bb.96:                               ;   in Loop: Header=BB1_19 Depth=1
	v_readlane_b32 s8, v63, 3
	v_readlane_b32 s9, v63, 4
	v_cmp_gt_f32_e32 vcc, 0, v27
	v_mov_b32_e32 v1, -1
	s_nop 2
	global_load_dword v9, v46, s[8:9]
	s_waitcnt vmcnt(0)
	v_cmp_ge_f32_e64 s[8:9], v34, v9
	s_and_b64 s[30:31], s[8:9], vcc
	s_and_saveexec_b64 s[8:9], s[30:31]
	s_cbranch_execz .LBB1_98
; %bb.97:                               ;   in Loop: Header=BB1_19 Depth=1
	v_sub_f32_e32 v1, v9, v34
	v_div_scale_f32 v2, s[30:31], v27, v27, v1
	v_div_scale_f32 v9, vcc, v1, v27, v1
	v_readlane_b32 s30, v63, 15
	v_rcp_f32_e32 v10, v2
	v_fma_f32 v11, -v2, v10, 1.0
	v_fmac_f32_e32 v10, v11, v10
	v_mul_f32_e32 v11, v9, v10
	v_fma_f32 v12, -v2, v11, v9
	v_fmac_f32_e32 v11, v12, v10
	v_fma_f32 v2, -v2, v11, v9
	v_div_fmas_f32 v2, v2, v10, v11
	v_div_fixup_f32 v2, v2, v27, v1
	v_mov_b32_e32 v1, s30
.LBB1_98:                               ;   in Loop: Header=BB1_19 Depth=1
	s_or_b64 exec, exec, s[8:9]
.LBB1_99:                               ;   in Loop: Header=BB1_19 Depth=1
	s_andn2_saveexec_b64 s[8:9], s[22:23]
	s_cbranch_execz .LBB1_101
; %bb.100:                              ;   in Loop: Header=BB1_19 Depth=1
	v_sub_f32_e32 v1, v4, v34
	v_div_scale_f32 v2, s[22:23], v27, v27, v1
	v_div_scale_f32 v9, vcc, v1, v27, v1
	v_rcp_f32_e32 v10, v2
	v_fma_f32 v11, -v2, v10, 1.0
	v_fmac_f32_e32 v10, v11, v10
	v_mul_f32_e32 v11, v9, v10
	v_fma_f32 v12, -v2, v11, v9
	v_fmac_f32_e32 v11, v12, v10
	v_fma_f32 v2, -v2, v11, v9
	v_div_fmas_f32 v2, v2, v10, v11
	v_div_fixup_f32 v2, v2, v27, v1
	v_mov_b32_e32 v1, 0
.LBB1_101:                              ;   in Loop: Header=BB1_19 Depth=1
	s_or_b64 exec, exec, s[8:9]
	v_cmp_lt_i32_e32 vcc, -1, v1
	v_cmp_le_f32_e64 s[8:9], v2, v8
	s_and_b64 s[22:23], vcc, s[8:9]
	s_mov_b64 s[30:31], -1
	s_and_saveexec_b64 s[8:9], s[22:23]
	s_cbranch_execz .LBB1_119
; %bb.102:                              ;   in Loop: Header=BB1_19 Depth=1
	v_fma_f32 v10, v26, v2, v58
	v_cmp_nlt_f32_e32 vcc, v10, v3
	v_mov_b32_e32 v9, -1
	s_and_saveexec_b64 s[22:23], vcc
	s_cbranch_execz .LBB1_108
; %bb.103:                              ;   in Loop: Header=BB1_19 Depth=1
	global_load_dword v9, v46, s[78:79]
	v_readlane_b32 s30, v63, 2
	v_mov_b32_e32 v11, s30
	v_readlane_b32 s30, v63, 18
	v_readlane_b32 s31, v63, 19
	s_waitcnt vmcnt(0)
	v_cmp_gt_f32_e32 vcc, v10, v9
	s_nor_b64 s[52:53], vcc, s[30:31]
	v_readlane_b32 s30, v63, 16
	v_readlane_b32 s31, v63, 17
	v_cndmask_b32_e64 v9, 0, -1, vcc
	s_or_b64 vcc, vcc, s[30:31]
	v_cndmask_b32_e32 v9, v11, v9, vcc
	s_and_saveexec_b64 s[30:31], s[52:53]
	s_cbranch_execz .LBB1_107
; %bb.104:                              ;   in Loop: Header=BB1_19 Depth=1
	v_mov_b32_e32 v11, 0
	s_mov_b64 s[52:53], 0
	v_mov_b32_e32 v9, s24
.LBB1_105:                              ;   Parent Loop BB1_19 Depth=1
                                        ; =>  This Inner Loop Header: Depth=2
	v_add_u32_e32 v12, v11, v9
	v_lshrrev_b32_e32 v45, 1, v12
	v_lshlrev_b64 v[12:13], 2, v[45:46]
	v_mov_b32_e32 v14, s37
	v_add_co_u32_e32 v12, vcc, s36, v12
	v_addc_co_u32_e32 v13, vcc, v14, v13, vcc
	global_load_dword v12, v[12:13], off
	s_waitcnt vmcnt(0)
	v_cmp_nle_f32_e32 vcc, v10, v12
	v_cndmask_b32_e32 v11, v11, v45, vcc
	v_cndmask_b32_e32 v9, v45, v9, vcc
	v_sub_u32_e32 v12, v9, v11
	v_cmp_gt_i32_e32 vcc, 2, v12
	s_or_b64 s[52:53], vcc, s[52:53]
	s_andn2_b64 exec, exec, s[52:53]
	s_cbranch_execnz .LBB1_105
; %bb.106:                              ;   in Loop: Header=BB1_19 Depth=1
	s_or_b64 exec, exec, s[52:53]
	v_add_u32_e32 v9, -1, v9
.LBB1_107:                              ;   in Loop: Header=BB1_19 Depth=1
	s_or_b64 exec, exec, s[30:31]
.LBB1_108:                              ;   in Loop: Header=BB1_19 Depth=1
	s_or_b64 exec, exec, s[22:23]
	v_cmp_lt_i32_e32 vcc, -1, v9
	s_mov_b64 s[30:31], -1
	s_and_saveexec_b64 s[22:23], vcc
	s_cbranch_execz .LBB1_118
; %bb.109:                              ;   in Loop: Header=BB1_19 Depth=1
	global_load_dword v11, v46, s[76:77]
	v_fma_f32 v10, v28, v2, v35
	s_waitcnt vmcnt(0)
	v_cmp_nlt_f32_e32 vcc, v10, v11
	v_mov_b32_e32 v11, -1
	s_and_saveexec_b64 s[30:31], vcc
	s_cbranch_execz .LBB1_115
; %bb.110:                              ;   in Loop: Header=BB1_19 Depth=1
	v_readlane_b32 s52, v63, 9
	v_readlane_b32 s53, v63, 10
	s_nop 4
	global_load_dword v11, v46, s[52:53]
	v_readlane_b32 s52, v63, 20
	v_mov_b32_e32 v12, s52
	v_readlane_b32 s52, v63, 13
	v_readlane_b32 s53, v63, 14
	s_waitcnt vmcnt(0)
	v_cmp_gt_f32_e32 vcc, v10, v11
	s_nor_b64 s[54:55], vcc, s[52:53]
	v_readlane_b32 s52, v63, 11
	v_readlane_b32 s53, v63, 12
	v_cndmask_b32_e64 v11, 0, -1, vcc
	s_or_b64 vcc, vcc, s[52:53]
	v_cndmask_b32_e32 v11, v12, v11, vcc
	s_and_saveexec_b64 s[52:53], s[54:55]
	s_cbranch_execz .LBB1_114
; %bb.111:                              ;   in Loop: Header=BB1_19 Depth=1
	v_mov_b32_e32 v12, 0
	s_mov_b64 s[54:55], 0
	v_mov_b32_e32 v11, s26
.LBB1_112:                              ;   Parent Loop BB1_19 Depth=1
                                        ; =>  This Inner Loop Header: Depth=2
	v_add_u32_e32 v13, v12, v11
	v_lshrrev_b32_e32 v45, 1, v13
	v_lshlrev_b64 v[13:14], 2, v[45:46]
	v_mov_b32_e32 v15, s77
	v_add_co_u32_e32 v13, vcc, s76, v13
	v_addc_co_u32_e32 v14, vcc, v15, v14, vcc
	global_load_dword v13, v[13:14], off
	s_waitcnt vmcnt(0)
	v_cmp_nle_f32_e32 vcc, v10, v13
	v_cndmask_b32_e32 v12, v12, v45, vcc
	v_cndmask_b32_e32 v11, v45, v11, vcc
	v_sub_u32_e32 v13, v11, v12
	v_cmp_gt_i32_e32 vcc, 2, v13
	s_or_b64 s[54:55], vcc, s[54:55]
	s_andn2_b64 exec, exec, s[54:55]
	s_cbranch_execnz .LBB1_112
; %bb.113:                              ;   in Loop: Header=BB1_19 Depth=1
	s_or_b64 exec, exec, s[54:55]
	v_add_u32_e32 v11, -1, v11
.LBB1_114:                              ;   in Loop: Header=BB1_19 Depth=1
	s_or_b64 exec, exec, s[52:53]
.LBB1_115:                              ;   in Loop: Header=BB1_19 Depth=1
	s_or_b64 exec, exec, s[30:31]
	v_cmp_lt_i32_e32 vcc, -1, v11
	s_mov_b64 s[30:31], -1
	s_and_saveexec_b64 s[52:53], vcc
	s_cbranch_execz .LBB1_117
; %bb.116:                              ;   in Loop: Header=BB1_19 Depth=1
	v_mad_u64_u32 v[0:1], s[30:31], s25, v11, v[1:2]
	s_xor_b64 s[30:31], exec, -1
	v_mov_b32_e32 v8, v2
	v_mul_lo_u32 v0, v0, s24
	v_add3_u32 v0, v9, v0, 1
.LBB1_117:                              ;   in Loop: Header=BB1_19 Depth=1
	s_or_b64 exec, exec, s[52:53]
	s_orn2_b64 s[30:31], s[30:31], exec
.LBB1_118:                              ;   in Loop: Header=BB1_19 Depth=1
	s_or_b64 exec, exec, s[22:23]
	s_orn2_b64 s[30:31], s[30:31], exec
.LBB1_119:                              ;   in Loop: Header=BB1_19 Depth=1
	s_or_b64 exec, exec, s[8:9]
	s_and_saveexec_b64 s[22:23], s[30:31]
	s_cbranch_execz .LBB1_145
; %bb.120:                              ;   in Loop: Header=BB1_19 Depth=1
	global_load_dword v0, v46, s[76:77]
	v_cmp_nlt_f32_e64 s[8:9], 0, v28
                                        ; implicit-def: $vgpr9
	s_waitcnt vmcnt(0)
	v_cmp_nle_f32_e32 vcc, v35, v0
	s_or_b64 s[8:9], vcc, s[8:9]
	s_and_saveexec_b64 s[30:31], s[8:9]
	s_xor_b64 s[30:31], exec, s[30:31]
	s_cbranch_execz .LBB1_124
; %bb.121:                              ;   in Loop: Header=BB1_19 Depth=1
	v_readlane_b32 s8, v63, 9
	v_readlane_b32 s9, v63, 10
	v_cmp_gt_f32_e32 vcc, 0, v28
	v_mov_b32_e32 v9, -1
	s_nop 2
	global_load_dword v0, v46, s[8:9]
	s_waitcnt vmcnt(0)
	v_cmp_ge_f32_e64 s[8:9], v35, v0
	s_and_b64 s[52:53], s[8:9], vcc
	s_and_saveexec_b64 s[8:9], s[52:53]
	s_cbranch_execz .LBB1_123
; %bb.122:                              ;   in Loop: Header=BB1_19 Depth=1
	v_sub_f32_e32 v0, v0, v35
	v_div_scale_f32 v1, s[52:53], v28, v28, v0
	v_div_scale_f32 v2, vcc, v0, v28, v0
	v_readlane_b32 s52, v63, 20
	v_rcp_f32_e32 v9, v1
	v_fma_f32 v10, -v1, v9, 1.0
	v_fmac_f32_e32 v9, v10, v9
	v_mul_f32_e32 v10, v2, v9
	v_fma_f32 v11, -v1, v10, v2
	v_fmac_f32_e32 v10, v11, v9
	v_fma_f32 v1, -v1, v10, v2
	v_div_fmas_f32 v1, v1, v9, v10
	v_mov_b32_e32 v9, s52
	v_div_fixup_f32 v2, v1, v28, v0
.LBB1_123:                              ;   in Loop: Header=BB1_19 Depth=1
	s_or_b64 exec, exec, s[8:9]
                                        ; implicit-def: $vgpr0
.LBB1_124:                              ;   in Loop: Header=BB1_19 Depth=1
	s_andn2_saveexec_b64 s[8:9], s[30:31]
	s_cbranch_execz .LBB1_126
; %bb.125:                              ;   in Loop: Header=BB1_19 Depth=1
	v_sub_f32_e32 v0, v0, v35
	v_div_scale_f32 v1, s[30:31], v28, v28, v0
	v_div_scale_f32 v2, vcc, v0, v28, v0
	v_rcp_f32_e32 v9, v1
	v_fma_f32 v10, -v1, v9, 1.0
	v_fmac_f32_e32 v9, v10, v9
	v_mul_f32_e32 v10, v2, v9
	v_fma_f32 v11, -v1, v10, v2
	v_fmac_f32_e32 v10, v11, v9
	v_fma_f32 v1, -v1, v10, v2
	v_div_fmas_f32 v1, v1, v9, v10
	v_mov_b32_e32 v9, 0
	v_div_fixup_f32 v2, v1, v28, v0
.LBB1_126:                              ;   in Loop: Header=BB1_19 Depth=1
	s_or_b64 exec, exec, s[8:9]
	v_cmp_lt_i32_e32 vcc, -1, v9
	v_cmp_le_f32_e64 s[8:9], v2, v8
	s_and_b64 s[30:31], vcc, s[8:9]
	v_mov_b32_e32 v0, 0
	s_and_saveexec_b64 s[8:9], s[30:31]
	s_cbranch_execz .LBB1_144
; %bb.127:                              ;   in Loop: Header=BB1_19 Depth=1
	v_fma_f32 v0, v26, v2, v58
	v_cmp_nlt_f32_e32 vcc, v0, v3
	v_mov_b32_e32 v3, -1
	s_and_saveexec_b64 s[30:31], vcc
	s_cbranch_execz .LBB1_133
; %bb.128:                              ;   in Loop: Header=BB1_19 Depth=1
	global_load_dword v1, v46, s[78:79]
	v_readlane_b32 s52, v63, 2
	v_mov_b32_e32 v3, s52
	v_readlane_b32 s52, v63, 18
	v_readlane_b32 s53, v63, 19
	s_waitcnt vmcnt(0)
	v_cmp_gt_f32_e32 vcc, v0, v1
	s_nor_b64 s[54:55], vcc, s[52:53]
	v_readlane_b32 s52, v63, 16
	v_readlane_b32 s53, v63, 17
	v_cndmask_b32_e64 v1, 0, -1, vcc
	s_or_b64 vcc, vcc, s[52:53]
	v_cndmask_b32_e32 v3, v3, v1, vcc
	s_and_saveexec_b64 s[52:53], s[54:55]
	s_cbranch_execz .LBB1_132
; %bb.129:                              ;   in Loop: Header=BB1_19 Depth=1
	v_mov_b32_e32 v3, 0
	s_mov_b64 s[54:55], 0
	v_mov_b32_e32 v1, s24
.LBB1_130:                              ;   Parent Loop BB1_19 Depth=1
                                        ; =>  This Inner Loop Header: Depth=2
	v_add_u32_e32 v10, v3, v1
	v_lshrrev_b32_e32 v45, 1, v10
	v_lshlrev_b64 v[10:11], 2, v[45:46]
	v_mov_b32_e32 v12, s37
	v_add_co_u32_e32 v10, vcc, s36, v10
	v_addc_co_u32_e32 v11, vcc, v12, v11, vcc
	global_load_dword v10, v[10:11], off
	s_waitcnt vmcnt(0)
	v_cmp_nle_f32_e32 vcc, v0, v10
	v_cndmask_b32_e32 v3, v3, v45, vcc
	v_cndmask_b32_e32 v1, v45, v1, vcc
	v_sub_u32_e32 v10, v1, v3
	v_cmp_gt_i32_e32 vcc, 2, v10
	s_or_b64 s[54:55], vcc, s[54:55]
	s_andn2_b64 exec, exec, s[54:55]
	s_cbranch_execnz .LBB1_130
; %bb.131:                              ;   in Loop: Header=BB1_19 Depth=1
	s_or_b64 exec, exec, s[54:55]
	v_add_u32_e32 v3, -1, v1
.LBB1_132:                              ;   in Loop: Header=BB1_19 Depth=1
	s_or_b64 exec, exec, s[52:53]
.LBB1_133:                              ;   in Loop: Header=BB1_19 Depth=1
	s_or_b64 exec, exec, s[30:31]
	v_cmp_lt_i32_e32 vcc, -1, v3
	v_mov_b32_e32 v0, 0
	s_and_saveexec_b64 s[30:31], vcc
	s_cbranch_execz .LBB1_143
; %bb.134:                              ;   in Loop: Header=BB1_19 Depth=1
	v_fma_f32 v0, v27, v2, v34
	v_cmp_nlt_f32_e32 vcc, v0, v4
	v_mov_b32_e32 v1, -1
	s_and_saveexec_b64 s[52:53], vcc
	s_cbranch_execz .LBB1_140
; %bb.135:                              ;   in Loop: Header=BB1_19 Depth=1
	v_readlane_b32 s54, v63, 3
	v_readlane_b32 s55, v63, 4
	s_nop 4
	global_load_dword v1, v46, s[54:55]
	v_readlane_b32 s54, v63, 15
	v_mov_b32_e32 v4, s54
	v_readlane_b32 s54, v63, 7
	v_readlane_b32 s55, v63, 8
	s_waitcnt vmcnt(0)
	v_cmp_gt_f32_e32 vcc, v0, v1
	s_nor_b64 s[82:83], vcc, s[54:55]
	v_readlane_b32 s54, v63, 5
	v_readlane_b32 s55, v63, 6
	v_cndmask_b32_e64 v1, 0, -1, vcc
	s_or_b64 vcc, vcc, s[54:55]
	v_cndmask_b32_e32 v1, v4, v1, vcc
	s_and_saveexec_b64 s[54:55], s[82:83]
	s_cbranch_execz .LBB1_139
; %bb.136:                              ;   in Loop: Header=BB1_19 Depth=1
	v_mov_b32_e32 v4, 0
	s_mov_b64 s[82:83], 0
	v_mov_b32_e32 v1, s25
.LBB1_137:                              ;   Parent Loop BB1_19 Depth=1
                                        ; =>  This Inner Loop Header: Depth=2
	v_add_u32_e32 v10, v4, v1
	v_lshrrev_b32_e32 v45, 1, v10
	v_lshlrev_b64 v[10:11], 2, v[45:46]
	v_mov_b32_e32 v12, s39
	v_add_co_u32_e32 v10, vcc, s38, v10
	v_addc_co_u32_e32 v11, vcc, v12, v11, vcc
	global_load_dword v10, v[10:11], off
	s_waitcnt vmcnt(0)
	v_cmp_nle_f32_e32 vcc, v0, v10
	v_cndmask_b32_e32 v4, v4, v45, vcc
	v_cndmask_b32_e32 v1, v45, v1, vcc
	v_sub_u32_e32 v10, v1, v4
	v_cmp_gt_i32_e32 vcc, 2, v10
	s_or_b64 s[82:83], vcc, s[82:83]
	s_andn2_b64 exec, exec, s[82:83]
	s_cbranch_execnz .LBB1_137
; %bb.138:                              ;   in Loop: Header=BB1_19 Depth=1
	s_or_b64 exec, exec, s[82:83]
	v_add_u32_e32 v1, -1, v1
.LBB1_139:                              ;   in Loop: Header=BB1_19 Depth=1
	s_or_b64 exec, exec, s[54:55]
.LBB1_140:                              ;   in Loop: Header=BB1_19 Depth=1
	s_or_b64 exec, exec, s[52:53]
	v_cmp_lt_i32_e32 vcc, -1, v1
	v_mov_b32_e32 v0, 0
	s_and_saveexec_b64 s[52:53], vcc
	s_cbranch_execz .LBB1_142
; %bb.141:                              ;   in Loop: Header=BB1_19 Depth=1
	v_mad_u64_u32 v[0:1], s[54:55], s25, v9, v[1:2]
	v_mov_b32_e32 v8, v2
	v_mul_lo_u32 v0, v0, s24
	v_add3_u32 v0, v3, v0, 1
.LBB1_142:                              ;   in Loop: Header=BB1_19 Depth=1
	s_or_b64 exec, exec, s[52:53]
.LBB1_143:                              ;   in Loop: Header=BB1_19 Depth=1
	s_or_b64 exec, exec, s[30:31]
.LBB1_144:                              ;   in Loop: Header=BB1_19 Depth=1
	s_or_b64 exec, exec, s[8:9]
.LBB1_145:                              ;   in Loop: Header=BB1_19 Depth=1
	s_or_b64 exec, exec, s[22:23]
.LBB1_146:                              ;   in Loop: Header=BB1_19 Depth=1
	s_or_b64 exec, exec, s[14:15]
.LBB1_147:                              ;   in Loop: Header=BB1_19 Depth=1
	s_or_b64 exec, exec, s[12:13]
	v_cmp_eq_u32_e64 s[8:9], 0, v0
	s_and_b64 s[12:13], s[4:5], s[8:9]
	v_mov_b32_e32 v1, 0
	s_xor_b64 s[14:15], s[12:13], -1
	v_mov_b32_e32 v45, 1
	v_mov_b32_e32 v30, -1
	s_and_saveexec_b64 s[12:13], s[14:15]
	s_cbranch_execz .LBB1_155
; %bb.148:                              ;   in Loop: Header=BB1_19 Depth=1
	s_and_saveexec_b64 s[14:15], s[6:7]
	s_cbranch_execz .LBB1_150
; %bb.149:                              ;   in Loop: Header=BB1_19 Depth=1
	v_div_scale_f32 v1, s[6:7], v7, v7, v8
	v_div_scale_f32 v2, vcc, v8, v7, v8
	v_rcp_f32_e32 v3, v1
	s_waitcnt vmcnt(0)
	v_fma_f32 v4, -v1, v3, 1.0
	v_fmac_f32_e32 v3, v4, v3
	v_mul_f32_e32 v4, v2, v3
	v_fma_f32 v5, -v1, v4, v2
	v_fmac_f32_e32 v4, v5, v3
	v_fma_f32 v1, -v1, v4, v2
	v_div_fmas_f32 v1, v1, v3, v4
	v_div_fixup_f32 v1, v1, v7, v8
	v_sub_f32_e64 v1, -v6, v1
	v_max_f32_e32 v5, 0, v1
.LBB1_150:                              ;   in Loop: Header=BB1_19 Depth=1
	s_or_b64 exec, exec, s[14:15]
	v_cmp_ne_u32_e32 vcc, v0, v41
	v_mov_b32_e32 v30, v36
	s_and_saveexec_b64 s[6:7], vcc
	s_cbranch_execz .LBB1_152
; %bb.151:                              ;   in Loop: Header=BB1_19 Depth=1
	v_mov_b32_e32 v1, v46
	v_lshlrev_b64 v[1:2], 4, v[0:1]
	v_mov_b32_e32 v3, s69
	v_add_co_u32_e32 v1, vcc, s68, v1
	v_addc_co_u32_e32 v2, vcc, v3, v2, vcc
	global_load_dword v30, v[1:2], off
	global_load_dword v38, v[1:2], off offset:8
	v_mov_b32_e32 v41, v0
	s_waitcnt vmcnt(1)
	v_lshrrev_b32_e32 v33, 16, v30
.LBB1_152:                              ;   in Loop: Header=BB1_19 Depth=1
	s_or_b64 exec, exec, s[6:7]
	s_waitcnt vmcnt(0)
	v_cmp_nle_f32_e32 vcc, v23, v38
	v_mov_b32_e32 v45, 0
	s_and_saveexec_b64 s[6:7], vcc
; %bb.153:                              ;   in Loop: Header=BB1_19 Depth=1
	s_xor_b64 s[4:5], s[4:5], -1
	s_and_b64 s[4:5], s[8:9], s[4:5]
	v_cndmask_b32_e64 v45, 2, 1, s[4:5]
; %bb.154:                              ;   in Loop: Header=BB1_19 Depth=1
	s_or_b64 exec, exec, s[6:7]
	v_fmac_f32_e32 v58, v26, v8
	v_fmac_f32_e32 v34, v27, v8
	;; [unrolled: 1-line block ×3, first 2 shown]
	v_mov_b32_e32 v1, v41
.LBB1_155:                              ;   in Loop: Header=BB1_19 Depth=1
	s_or_b64 exec, exec, s[12:13]
	v_mov_b32_e32 v41, v1
.LBB1_156:                              ;   in Loop: Header=BB1_19 Depth=1
	s_or_b64 exec, exec, s[10:11]
	v_cmp_eq_u16_sdwa s[4:5], v45, v48 src0_sel:BYTE_0 src1_sel:DWORD
	s_and_b64 s[4:5], s[20:21], s[4:5]
	s_mov_b64 s[22:23], 0
	s_and_saveexec_b64 s[6:7], s[4:5]
; %bb.157:                              ;   in Loop: Header=BB1_19 Depth=1
	v_cmp_eq_u16_e32 vcc, v30, v36
	v_cmp_ne_u16_e64 s[4:5], -1, v30
	s_mov_b32 s8, 0x3727c5ac
	s_and_b64 s[4:5], vcc, s[4:5]
	v_cmp_nle_f32_e32 vcc, s8, v5
	s_and_b64 s[4:5], vcc, s[4:5]
	v_mov_b32_e32 v45, 2
	s_and_b64 s[22:23], s[4:5], exec
; %bb.158:                              ;   in Loop: Header=BB1_19 Depth=1
	s_or_b64 exec, exec, s[6:7]
	flat_load_ubyte v0, v[51:52] glc
	s_waitcnt vmcnt(0) lgkmcnt(0)
	v_cmp_lt_u32_e32 vcc, 1, v0
	v_add_u32_e32 v0, 1, v0
	s_and_saveexec_b64 s[52:53], vcc
	s_cbranch_execz .LBB1_160
; %bb.159:                              ;   in Loop: Header=BB1_19 Depth=1
	s_add_u32 s8, s16, 8
	s_addc_u32 s9, s17, 0
	s_getpc_b64 s[4:5]
	s_add_u32 s4, s4, _Z17MT_generate_arrayv@rel32@lo+4
	s_addc_u32 s5, s5, _Z17MT_generate_arrayv@rel32@hi+12
	s_swappc_b64 s[30:31], s[4:5]
	v_mov_b32_e32 v0, 0
.LBB1_160:                              ;   in Loop: Header=BB1_19 Depth=1
	s_or_b64 exec, exec, s[52:53]
	s_and_saveexec_b64 s[4:5], s[18:19]
	s_cbranch_execz .LBB1_162
; %bb.161:                              ;   in Loop: Header=BB1_19 Depth=1
	flat_store_byte v[51:52], v0
	s_waitcnt vmcnt(0)
.LBB1_162:                              ;   in Loop: Header=BB1_19 Depth=1
	s_or_b64 exec, exec, s[4:5]
	v_lshl_add_u32 v0, v0, 7, v57
	ds_read_b32 v36, v0
	flat_load_ubyte v0, v[51:52] glc
	s_waitcnt vmcnt(0) lgkmcnt(0)
	v_cmp_lt_u32_e32 vcc, 1, v0
	v_add_u32_e32 v2, 1, v0
	s_and_saveexec_b64 s[52:53], vcc
	s_cbranch_execz .LBB1_164
; %bb.163:                              ;   in Loop: Header=BB1_19 Depth=1
	s_add_u32 s8, s16, 8
	s_addc_u32 s9, s17, 0
	s_getpc_b64 s[4:5]
	s_add_u32 s4, s4, _Z17MT_generate_arrayv@rel32@lo+4
	s_addc_u32 s5, s5, _Z17MT_generate_arrayv@rel32@hi+12
	s_swappc_b64 s[30:31], s[4:5]
	v_mov_b32_e32 v2, 0
.LBB1_164:                              ;   in Loop: Header=BB1_19 Depth=1
	s_or_b64 exec, exec, s[52:53]
	s_and_saveexec_b64 s[4:5], s[18:19]
	s_cbranch_execz .LBB1_166
; %bb.165:                              ;   in Loop: Header=BB1_19 Depth=1
	flat_store_byte v[51:52], v2
	s_waitcnt vmcnt(0)
.LBB1_166:                              ;   in Loop: Header=BB1_19 Depth=1
	s_or_b64 exec, exec, s[4:5]
	v_and_b32_e32 v0, 1, v33
	v_cmp_eq_u32_e32 vcc, 1, v0
	v_sub_f32_e32 v0, 1.0, v29
	s_and_b64 s[4:5], s[22:23], vcc
	v_cmp_lt_f32_e32 vcc, v36, v0
	s_and_b64 s[4:5], s[4:5], vcc
	v_cndmask_b32_e64 v45, v45, 3, s[4:5]
	s_xor_b64 s[4:5], s[4:5], -1
	s_and_b64 s[4:5], s[4:5], s[22:23]
	s_and_saveexec_b64 s[6:7], s[4:5]
	s_cbranch_execz .LBB1_170
; %bb.167:                              ;   in Loop: Header=BB1_19 Depth=1
	v_and_b32_e32 v0, 0xffff, v30
	v_mad_u32_u24 v0, v0, s87, v25
	v_ashrrev_i32_e32 v1, 31, v0
	v_lshlrev_b64 v[0:1], 3, v[0:1]
	v_mov_b32_e32 v4, s97
	v_add_co_u32_e32 v3, vcc, s96, v0
	v_addc_co_u32_e32 v4, vcc, v4, v1, vcc
	global_load_dwordx2 v[3:4], v[3:4], off
	v_lshl_add_u32 v2, v2, 7, v57
	ds_read_b32 v2, v2
	s_mov_b32 s4, 0x3f82d11e
	v_cmp_nlt_f32_e32 vcc, s4, v23
	v_mov_b32_e32 v45, 6
	s_waitcnt vmcnt(0)
	v_fmac_f32_e32 v3, v42, v4
	s_waitcnt lgkmcnt(0)
	v_cmp_nle_f32_e64 s[4:5], v2, v3
	s_or_b64 s[8:9], s[4:5], vcc
	s_and_saveexec_b64 s[4:5], s[8:9]
	s_cbranch_execz .LBB1_169
; %bb.168:                              ;   in Loop: Header=BB1_19 Depth=1
	v_mov_b32_e32 v3, s99
	v_add_co_u32_e32 v0, vcc, s98, v0
	v_addc_co_u32_e32 v1, vcc, v3, v1, vcc
	global_load_dwordx2 v[0:1], v[0:1], off
	s_waitcnt vmcnt(0)
	v_fmac_f32_e32 v0, v42, v1
	v_cmp_lt_f32_e32 vcc, v2, v0
	v_cndmask_b32_e64 v45, 5, 4, vcc
.LBB1_169:                              ;   in Loop: Header=BB1_19 Depth=1
	s_or_b64 exec, exec, s[4:5]
.LBB1_170:                              ;   in Loop: Header=BB1_19 Depth=1
	s_or_b64 exec, exec, s[6:7]
	v_cndmask_b32_e64 v0, 0, 1, s[20:21]
	v_cmp_ne_u32_e32 vcc, 0, v0
	s_and_saveexec_b64 s[4:5], s[18:19]
	s_cbranch_execz .LBB1_172
; %bb.171:                              ;   in Loop: Header=BB1_19 Depth=1
	flat_load_dword v0, v[53:54] glc
	s_waitcnt vmcnt(0)
	s_bcnt1_i32_b32 s6, vcc_lo
	s_waitcnt lgkmcnt(0)
	v_add_u32_e32 v0, s6, v0
	flat_store_dword v[53:54], v0
	s_waitcnt vmcnt(0)
	flat_load_dword v0, v[55:56] glc
	s_waitcnt vmcnt(0) lgkmcnt(0)
	v_add_u32_e32 v0, 1, v0
	flat_store_dword v[55:56], v0
	s_waitcnt vmcnt(0)
.LBB1_172:                              ;   in Loop: Header=BB1_19 Depth=1
	s_or_b64 exec, exec, s[4:5]
.LBB1_173:                              ;   in Loop: Header=BB1_19 Depth=1
	v_cndmask_b32_e64 v2, 0, 1, s[20:21]
	v_cmp_ne_u32_e32 vcc, 0, v2
	s_cmp_eq_u64 vcc, exec
	s_mov_b64 s[82:83], -1
	s_cbranch_scc1 .LBB1_393
; %bb.174:                              ;   in Loop: Header=BB1_19 Depth=1
	v_mov_b32_e32 v0, 7
	v_cmp_eq_u16_sdwa s[22:23], v45, v0 src0_sel:BYTE_0 src1_sel:DWORD
	s_mov_b64 vcc, s[22:23]
	s_cbranch_vccz .LBB1_200
; %bb.175:                              ;   in Loop: Header=BB1_19 Depth=1
	flat_load_ubyte v0, v[51:52] glc
	s_waitcnt vmcnt(0) lgkmcnt(0)
	v_cmp_lt_u32_e32 vcc, 1, v0
	v_add_u32_e32 v0, 1, v0
	s_and_saveexec_b64 s[52:53], vcc
	s_cbranch_execz .LBB1_177
; %bb.176:                              ;   in Loop: Header=BB1_19 Depth=1
	s_add_u32 s8, s16, 8
	s_addc_u32 s9, s17, 0
	s_getpc_b64 s[4:5]
	s_add_u32 s4, s4, _Z17MT_generate_arrayv@rel32@lo+4
	s_addc_u32 s5, s5, _Z17MT_generate_arrayv@rel32@hi+12
	s_swappc_b64 s[30:31], s[4:5]
	v_mov_b32_e32 v0, 0
.LBB1_177:                              ;   in Loop: Header=BB1_19 Depth=1
	s_or_b64 exec, exec, s[52:53]
	s_and_saveexec_b64 s[4:5], s[18:19]
	s_cbranch_execz .LBB1_179
; %bb.178:                              ;   in Loop: Header=BB1_19 Depth=1
	flat_store_byte v[51:52], v0
	s_waitcnt vmcnt(0)
.LBB1_179:                              ;   in Loop: Header=BB1_19 Depth=1
	s_or_b64 exec, exec, s[4:5]
	v_lshl_add_u32 v0, v0, 7, v57
	ds_read_b32 v25, v0
	flat_load_ubyte v0, v[51:52] glc
	s_waitcnt vmcnt(0) lgkmcnt(0)
	v_cmp_lt_u32_e32 vcc, 1, v0
	v_add_u32_e32 v0, 1, v0
	s_and_saveexec_b64 s[52:53], vcc
	s_cbranch_execz .LBB1_181
; %bb.180:                              ;   in Loop: Header=BB1_19 Depth=1
	s_add_u32 s8, s16, 8
	s_addc_u32 s9, s17, 0
	s_getpc_b64 s[4:5]
	s_add_u32 s4, s4, _Z17MT_generate_arrayv@rel32@lo+4
	s_addc_u32 s5, s5, _Z17MT_generate_arrayv@rel32@hi+12
	s_swappc_b64 s[30:31], s[4:5]
	v_mov_b32_e32 v0, 0
.LBB1_181:                              ;   in Loop: Header=BB1_19 Depth=1
	s_or_b64 exec, exec, s[52:53]
	s_and_saveexec_b64 s[4:5], s[18:19]
	s_cbranch_execz .LBB1_183
; %bb.182:                              ;   in Loop: Header=BB1_19 Depth=1
	flat_store_byte v[51:52], v0
	s_waitcnt vmcnt(0)
.LBB1_183:                              ;   in Loop: Header=BB1_19 Depth=1
	s_or_b64 exec, exec, s[4:5]
	v_lshl_add_u32 v0, v0, 7, v57
	ds_read_b32 v29, v0
	;; [unrolled: 25-line block ×3, first 2 shown]
	flat_load_ubyte v0, v[51:52] glc
	s_waitcnt vmcnt(0) lgkmcnt(0)
	v_cmp_lt_u32_e32 vcc, 1, v0
	v_add_u32_e32 v4, 1, v0
	s_and_saveexec_b64 s[52:53], vcc
	s_cbranch_execnz .LBB1_190
; %bb.188:                              ;   in Loop: Header=BB1_19 Depth=1
	s_or_b64 exec, exec, s[52:53]
	s_and_saveexec_b64 s[4:5], s[18:19]
	s_cbranch_execnz .LBB1_191
.LBB1_189:                              ;   in Loop: Header=BB1_19 Depth=1
	s_or_b64 exec, exec, s[4:5]
	v_mov_b32_e32 v0, 0
	s_and_saveexec_b64 s[6:7], s[22:23]
	s_cbranch_execnz .LBB1_192
	s_branch .LBB1_195
.LBB1_190:                              ;   in Loop: Header=BB1_19 Depth=1
	s_add_u32 s8, s16, 8
	s_addc_u32 s9, s17, 0
	s_getpc_b64 s[4:5]
	s_add_u32 s4, s4, _Z17MT_generate_arrayv@rel32@lo+4
	s_addc_u32 s5, s5, _Z17MT_generate_arrayv@rel32@hi+12
	s_swappc_b64 s[30:31], s[4:5]
	v_mov_b32_e32 v4, 0
	s_or_b64 exec, exec, s[52:53]
	s_and_saveexec_b64 s[4:5], s[18:19]
	s_cbranch_execz .LBB1_189
.LBB1_191:                              ;   in Loop: Header=BB1_19 Depth=1
	flat_store_byte v[51:52], v4
	s_waitcnt vmcnt(0)
	s_or_b64 exec, exec, s[4:5]
	v_mov_b32_e32 v0, 0
	s_and_saveexec_b64 s[6:7], s[22:23]
	s_cbranch_execz .LBB1_195
.LBB1_192:                              ;   in Loop: Header=BB1_19 Depth=1
	buffer_load_dword v7, off, s[0:3], 0 offset:300 ; 4-byte Folded Reload
	v_mov_b32_e32 v6, s43
	v_lshl_add_u32 v4, v4, 7, v57
	ds_read_b32 v4, v4
	s_waitcnt vmcnt(0)
	v_mul_f32_e32 v0, v30, v7
	v_cvt_i32_f32_e32 v0, v0
	v_ashrrev_i32_e32 v1, 31, v0
	v_lshlrev_b64 v[2:3], 2, v[0:1]
	v_add_co_u32_e32 v5, vcc, s42, v2
	v_addc_co_u32_e32 v6, vcc, v6, v3, vcc
	global_load_dword v5, v[5:6], off
	v_cvt_f32_i32_e32 v6, v0
	v_fma_f32 v6, v30, v7, -v6
	s_waitcnt vmcnt(0)
	v_cmp_gt_f32_e32 vcc, v6, v5
	s_and_saveexec_b64 s[4:5], vcc
	s_cbranch_execz .LBB1_194
; %bb.193:                              ;   in Loop: Header=BB1_19 Depth=1
	v_mov_b32_e32 v1, s89
	v_add_co_u32_e32 v0, vcc, s88, v2
	v_addc_co_u32_e32 v1, vcc, v1, v3, vcc
	global_load_dword v0, v[0:1], off
	s_waitcnt vmcnt(0)
	v_ashrrev_i32_e32 v1, 31, v0
.LBB1_194:                              ;   in Loop: Header=BB1_19 Depth=1
	s_or_b64 exec, exec, s[4:5]
	v_lshlrev_b64 v[0:1], 2, v[0:1]
	v_mov_b32_e32 v2, s41
	v_add_co_u32_e32 v0, vcc, s40, v0
	v_addc_co_u32_e32 v1, vcc, v2, v1, vcc
	global_load_dwordx2 v[23:24], v[0:1], off
	buffer_load_dword v8, off, s[0:3], 0 offset:32 ; 4-byte Folded Reload
	v_mov_b32_e32 v1, s91
	v_fma_f32 v1, s49, v29, v1
	v_subrev_f32_e32 v1, s45, v1
	v_mul_f32_e32 v2, v1, v1
	v_mov_b32_e32 v41, 0
	v_mov_b32_e32 v45, 2
	;; [unrolled: 1-line block ×6, first 2 shown]
	s_waitcnt vmcnt(0)
	v_sub_f32_e32 v0, v24, v23
	s_waitcnt lgkmcnt(0)
	v_fmac_f32_e32 v23, v4, v0
	v_mov_b32_e32 v0, s90
	v_fma_f32 v0, s48, v25, v0
	v_subrev_f32_e32 v0, s44, v0
	v_fmac_f32_e32 v2, v0, v0
	v_mul_f32_e32 v3, v8, v8
	v_add_f32_e32 v2, v3, v2
	v_div_scale_f32 v3, s[4:5], v2, v2, 1.0
	v_rcp_f32_e32 v4, v3
	v_fma_f32 v5, -v3, v4, 1.0
	v_fmac_f32_e32 v4, v5, v4
	v_div_scale_f32 v5, vcc, 1.0, v2, 1.0
	v_mul_f32_e32 v6, v5, v4
	v_fma_f32 v7, -v3, v6, v5
	v_fmac_f32_e32 v6, v7, v4
	v_fma_f32 v3, -v3, v6, v5
	v_div_fmas_f32 v3, v3, v4, v6
	v_div_fixup_f32 v2, v3, v2, 1.0
	v_cmp_gt_f32_e32 vcc, s80, v2
	v_mul_f32_e32 v3, 0x4f800000, v2
	v_cndmask_b32_e32 v3, v2, v3, vcc
	v_sqrt_f32_e32 v4, v3
	v_add_u32_e32 v5, -1, v4
	v_fma_f32 v6, -v5, v4, v3
	v_cmp_ge_f32_e64 s[4:5], 0, v6
	v_add_u32_e32 v6, 1, v4
	v_cndmask_b32_e64 v5, v4, v5, s[4:5]
	v_fma_f32 v4, -v6, v4, v3
	v_cmp_lt_f32_e64 s[4:5], 0, v4
	v_cndmask_b32_e64 v4, v5, v6, s[4:5]
	v_mul_f32_e32 v5, 0x37800000, v4
	v_cndmask_b32_e32 v4, v4, v5, vcc
	v_mov_b32_e32 v5, 0x260
	v_cmp_class_f32_e32 vcc, v3, v5
	v_cndmask_b32_e32 v3, v4, v3, vcc
	v_mul_f32_e32 v28, v8, v3
	v_mul_f32_e32 v26, v0, v3
	v_mul_f32_e64 v0, s50, |v28|
	v_mul_f32_e32 v24, v2, v0
	v_mov_b32_e32 v0, 0
	buffer_store_dword v0, off, s[0:3], 0 offset:12 ; 4-byte Folded Spill
	v_mov_b32_e32 v0, 0
	v_mul_f32_e32 v27, v1, v3
	buffer_store_dword v0, off, s[0:3], 0 offset:8 ; 4-byte Folded Spill
	v_mov_b32_e32 v0, v24
.LBB1_195:                              ;   in Loop: Header=BB1_19 Depth=1
	s_or_b64 exec, exec, s[6:7]
	buffer_load_dword v1, off, s[0:3], 0    ; 4-byte Folded Reload
	buffer_load_dword v2, off, s[0:3], 0 offset:4 ; 4-byte Folded Reload
	s_waitcnt vmcnt(0)
	flat_store_dword v[1:2], v0
	s_waitcnt vmcnt(0)
	s_and_saveexec_b64 s[4:5], s[18:19]
	s_cbranch_execz .LBB1_197
; %bb.196:                              ;   in Loop: Header=BB1_19 Depth=1
	buffer_load_dword v0, off, s[0:3], 0 offset:16 ; 4-byte Folded Reload
	buffer_load_dword v1, off, s[0:3], 0 offset:20 ; 4-byte Folded Reload
	s_waitcnt vmcnt(0)
	flat_load_dword v0, v[0:1] glc
	s_waitcnt vmcnt(0)
	buffer_load_dword v2, off, s[0:3], 0 offset:52 ; 4-byte Folded Reload
	buffer_load_dword v3, off, s[0:3], 0 offset:56 ; 4-byte Folded Reload
	s_waitcnt lgkmcnt(0)
	v_cvt_f64_f32_e32 v[0:1], v0
	s_waitcnt vmcnt(0)
	flat_load_dword v2, v[2:3] glc
	s_waitcnt vmcnt(0)
	v_add_f64 v[0:1], v[0:1], 0
	s_waitcnt lgkmcnt(0)
	v_cvt_f64_f32_e32 v[2:3], v2
	v_add_f64 v[0:1], v[0:1], v[2:3]
	buffer_load_dword v2, off, s[0:3], 0 offset:60 ; 4-byte Folded Reload
	buffer_load_dword v3, off, s[0:3], 0 offset:64 ; 4-byte Folded Reload
	s_waitcnt vmcnt(0)
	flat_load_dword v2, v[2:3] glc
	s_waitcnt vmcnt(0) lgkmcnt(0)
	v_cvt_f64_f32_e32 v[2:3], v2
	v_add_f64 v[0:1], v[0:1], v[2:3]
	buffer_load_dword v2, off, s[0:3], 0 offset:68 ; 4-byte Folded Reload
	buffer_load_dword v3, off, s[0:3], 0 offset:72 ; 4-byte Folded Reload
	s_waitcnt vmcnt(0)
	flat_load_dword v2, v[2:3] glc
	s_waitcnt vmcnt(0) lgkmcnt(0)
	;; [unrolled: 7-line block ×29, first 2 shown]
	v_cvt_f64_f32_e32 v[2:3], v2
	v_add_f64 v[0:1], v[0:1], v[2:3]
	buffer_load_dword v2, off, s[0:3], 0 offset:292 ; 4-byte Folded Reload
	buffer_load_dword v3, off, s[0:3], 0 offset:296 ; 4-byte Folded Reload
	s_waitcnt vmcnt(0)
	flat_load_dword v2, v[2:3] glc
	s_waitcnt vmcnt(0)
	buffer_load_dword v4, off, s[0:3], 0 offset:36 ; 4-byte Folded Reload
	buffer_load_dword v5, off, s[0:3], 0 offset:40 ; 4-byte Folded Reload
	s_waitcnt lgkmcnt(0)
	v_cvt_f64_f32_e32 v[2:3], v2
	v_add_f64 v[0:1], v[0:1], v[2:3]
	s_waitcnt vmcnt(0)
	flat_load_dwordx2 v[2:3], v[4:5] glc
	s_waitcnt vmcnt(0) lgkmcnt(0)
	v_add_f64 v[0:1], v[0:1], v[2:3]
	flat_store_dwordx2 v[4:5], v[0:1]
	s_waitcnt vmcnt(0)
.LBB1_197:                              ;   in Loop: Header=BB1_19 Depth=1
	s_or_b64 exec, exec, s[4:5]
	v_cndmask_b32_e64 v0, 0, 1, s[22:23]
	v_cmp_ne_u32_e32 vcc, 0, v0
	s_and_saveexec_b64 s[4:5], s[18:19]
	s_cbranch_execz .LBB1_199
; %bb.198:                              ;   in Loop: Header=BB1_19 Depth=1
	buffer_load_dword v1, off, s[0:3], 0 offset:44 ; 4-byte Folded Reload
	buffer_load_dword v2, off, s[0:3], 0 offset:48 ; 4-byte Folded Reload
	s_bcnt1_i32_b32 s6, vcc_lo
	s_waitcnt vmcnt(0)
	flat_load_dword v0, v[1:2] glc
	s_waitcnt vmcnt(0) lgkmcnt(0)
	v_add_u32_e32 v0, s6, v0
	flat_store_dword v[1:2], v0
	s_waitcnt vmcnt(0)
	flat_load_dword v0, v[55:56] glc
	s_waitcnt vmcnt(0) lgkmcnt(0)
	v_add_u32_e32 v0, 1, v0
	flat_store_dword v[55:56], v0
	s_waitcnt vmcnt(0)
.LBB1_199:                              ;   in Loop: Header=BB1_19 Depth=1
	s_or_b64 exec, exec, s[4:5]
.LBB1_200:                              ;   in Loop: Header=BB1_19 Depth=1
	s_or_b64 s[14:15], s[20:21], s[22:23]
	v_cndmask_b32_e64 v0, 0, 1, s[14:15]
	v_cmp_ne_u32_e32 vcc, 0, v0
	s_cmp_eq_u64 vcc, exec
	s_cbranch_scc1 .LBB1_216
; %bb.201:                              ;   in Loop: Header=BB1_19 Depth=1
	v_mov_b32_e32 v0, 1
	v_cmp_eq_u16_sdwa s[4:5], v45, v0 src0_sel:BYTE_0 src1_sel:DWORD
	s_mov_b64 vcc, s[4:5]
	s_cbranch_vccz .LBB1_293
; %bb.202:                              ;   in Loop: Header=BB1_19 Depth=1
	s_and_saveexec_b64 s[20:21], s[4:5]
	s_cbranch_execz .LBB1_290
; %bb.203:                              ;   in Loop: Header=BB1_19 Depth=1
	buffer_load_dword v0, off, s[0:3], 0 offset:8 ; 4-byte Folded Reload
	v_cmp_eq_u32_e32 vcc, 0, v41
	s_waitcnt vmcnt(0)
	v_cmp_eq_u16_sdwa s[6:7], v0, v46 src0_sel:BYTE_0 src1_sel:DWORD
	s_and_b64 s[6:7], s[6:7], vcc
	v_cmp_neq_f32_e32 vcc, 0, v28
	s_and_b64 s[6:7], s[6:7], vcc
	s_and_saveexec_b64 s[22:23], s[6:7]
	s_cbranch_execz .LBB1_289
; %bb.204:                              ;   in Loop: Header=BB1_19 Depth=1
	v_readlane_b32 s8, v63, 21
	v_readlane_b32 s10, v63, 23
	v_sub_f32_e32 v0, s10, v35
	v_div_scale_f32 v1, s[6:7], v28, v28, v0
	v_div_scale_f32 v2, vcc, v0, v28, v0
	v_readlane_b32 s9, v63, 22
	v_readlane_b32 s11, v63, 24
	v_rcp_f32_e32 v3, v1
	v_fma_f32 v4, -v1, v3, 1.0
	v_fmac_f32_e32 v3, v4, v3
	v_mul_f32_e32 v4, v2, v3
	v_fma_f32 v5, -v1, v4, v2
	v_fmac_f32_e32 v4, v5, v3
	v_fma_f32 v1, -v1, v4, v2
	v_div_fmas_f32 v1, v1, v3, v4
	v_div_fixup_f32 v1, v1, v28, v0
	v_cmp_ngt_f32_e32 vcc, 0, v1
	s_and_saveexec_b64 s[30:31], vcc
	s_cbranch_execz .LBB1_288
; %bb.205:                              ;   in Loop: Header=BB1_19 Depth=1
	v_fma_f32 v0, v26, v1, v58
	v_readlane_b32 s8, v63, 21
	v_subrev_f32_e32 v0, s8, v0
	v_div_scale_f32 v2, s[6:7], s56, s56, v0
	v_div_scale_f32 v3, vcc, v0, s56, v0
	v_readlane_b32 s9, v63, 22
	v_readlane_b32 s10, v63, 23
	v_readlane_b32 s11, v63, 24
	v_rcp_f32_e32 v4, v2
	v_fma_f32 v5, -v2, v4, 1.0
	v_fmac_f32_e32 v4, v5, v4
	v_mul_f32_e32 v5, v3, v4
	v_fma_f32 v6, -v2, v5, v3
	v_fmac_f32_e32 v5, v6, v4
	v_fma_f32 v2, -v2, v5, v3
	v_div_fmas_f32 v2, v2, v4, v5
	v_div_fixup_f32 v0, v2, s56, v0
	buffer_load_dword v2, off, s[0:3], 0 offset:344 ; 4-byte Folded Reload
	s_waitcnt vmcnt(0)
	v_add_f32_e32 v3, v0, v2
	v_floor_f32_e32 v2, v3
	v_sub_u32_e32 v0, 0x80000000, v3
	v_cmp_gt_i32_e32 vcc, 0, v3
	v_cndmask_b32_e32 v4, v3, v0, vcc
	v_sub_u32_e32 v0, 0x80000000, v2
	v_cmp_gt_i32_e32 vcc, 0, v2
	v_cndmask_b32_e32 v0, v2, v0, vcc
	v_sub_u32_e32 v0, v4, v0
	v_sub_u32_e32 v5, 0, v0
	v_max_i32_e32 v0, v0, v5
	v_cmp_lt_u32_e32 vcc, 20, v0
	v_mov_b32_e32 v0, 1
	s_and_saveexec_b64 s[6:7], vcc
	s_cbranch_execz .LBB1_207
; %bb.206:                              ;   in Loop: Header=BB1_19 Depth=1
	v_ceil_f32_e32 v0, v3
	v_sub_u32_e32 v3, 0x80000000, v0
	v_cmp_gt_i32_e32 vcc, 0, v0
	v_cndmask_b32_e32 v3, v0, v3, vcc
	v_sub_u32_e32 v3, v4, v3
	v_sub_u32_e32 v4, 0, v3
	v_max_i32_e32 v3, v3, v4
	v_cmp_gt_u32_e32 vcc, 21, v3
	v_cndmask_b32_e32 v2, v2, v0, vcc
	v_cndmask_b32_e64 v0, 0, 1, vcc
.LBB1_207:                              ;   in Loop: Header=BB1_19 Depth=1
	s_or_b64 exec, exec, s[6:7]
	v_readlane_b32 s8, v63, 21
	v_fma_f32 v1, v27, v1, v34
	v_readlane_b32 s9, v63, 22
	v_subrev_f32_e32 v1, s9, v1
	v_div_scale_f32 v3, s[6:7], s57, s57, v1
	v_div_scale_f32 v4, vcc, v1, s57, v1
	v_readlane_b32 s10, v63, 23
	v_readlane_b32 s11, v63, 24
	v_rcp_f32_e32 v5, v3
	v_fma_f32 v6, -v3, v5, 1.0
	v_fmac_f32_e32 v5, v6, v5
	v_mul_f32_e32 v6, v4, v5
	v_fma_f32 v7, -v3, v6, v4
	v_fmac_f32_e32 v6, v7, v5
	v_fma_f32 v3, -v3, v6, v4
	v_div_fmas_f32 v3, v3, v5, v6
	v_div_fixup_f32 v1, v3, s57, v1
	buffer_load_dword v3, off, s[0:3], 0 offset:348 ; 4-byte Folded Reload
	s_waitcnt vmcnt(0)
	v_add_f32_e32 v1, v1, v3
	v_floor_f32_e32 v3, v1
	v_sub_u32_e32 v4, 0x80000000, v1
	v_cmp_gt_i32_e32 vcc, 0, v1
	v_cndmask_b32_e32 v5, v1, v4, vcc
	v_sub_u32_e32 v4, 0x80000000, v3
	v_cmp_gt_i32_e32 vcc, 0, v3
	v_cndmask_b32_e32 v4, v3, v4, vcc
	v_sub_u32_e32 v4, v5, v4
	v_sub_u32_e32 v6, 0, v4
	v_max_i32_e32 v4, v4, v6
	v_cmp_lt_u32_e32 vcc, 20, v4
	v_or_b32_e32 v4, 2, v0
	s_and_saveexec_b64 s[6:7], vcc
	s_xor_b64 s[6:7], exec, s[6:7]
	s_cbranch_execz .LBB1_209
; %bb.208:                              ;   in Loop: Header=BB1_19 Depth=1
	v_ceil_f32_e32 v1, v1
	v_sub_u32_e32 v4, 0x80000000, v1
	v_cmp_gt_i32_e32 vcc, 0, v1
	v_cndmask_b32_e32 v4, v1, v4, vcc
	v_sub_u32_e32 v4, v5, v4
	v_sub_u32_e32 v5, 0, v4
	v_max_i32_e32 v4, v4, v5
	v_or_b32_e32 v5, 2, v0
	v_cmp_gt_u32_e32 vcc, 21, v4
	v_cndmask_b32_e32 v3, v3, v1, vcc
	v_cndmask_b32_e32 v4, v0, v5, vcc
.LBB1_209:                              ;   in Loop: Header=BB1_19 Depth=1
	s_andn2_saveexec_b64 s[6:7], s[6:7]
	s_or_b64 exec, exec, s[6:7]
	v_cmp_lt_i32_e32 vcc, 0, v32
	s_mov_b64 s[8:9], 0
                                        ; implicit-def: $vgpr0_vgpr1
	s_and_saveexec_b64 s[6:7], vcc
	s_xor_b64 s[6:7], exec, s[6:7]
	s_cbranch_execnz .LBB1_217
; %bb.210:                              ;   in Loop: Header=BB1_19 Depth=1
	s_andn2_saveexec_b64 s[6:7], s[6:7]
	s_cbranch_execnz .LBB1_226
.LBB1_211:                              ;   in Loop: Header=BB1_19 Depth=1
	s_or_b64 exec, exec, s[6:7]
	s_and_saveexec_b64 s[6:7], s[8:9]
.LBB1_212:                              ;   in Loop: Header=BB1_19 Depth=1
	v_mov_b32_e32 v0, 3
	v_mov_b32_e32 v1, 0
.LBB1_213:                              ;   in Loop: Header=BB1_19 Depth=1
	s_or_b64 exec, exec, s[6:7]
	v_cvt_i32_f32_e32 v13, v3
	v_cvt_i32_f32_e32 v2, v2
	v_cmp_lt_i32_e32 vcc, 1, v4
	s_mov_b64 s[10:11], 0
                                        ; implicit-def: $vgpr8
                                        ; implicit-def: $vgpr3
	s_and_saveexec_b64 s[6:7], vcc
	s_xor_b64 s[84:85], exec, s[6:7]
	s_cbranch_execnz .LBB1_227
; %bb.214:                              ;   in Loop: Header=BB1_19 Depth=1
	s_andn2_saveexec_b64 s[12:13], s[84:85]
	s_cbranch_execnz .LBB1_263
.LBB1_215:                              ;   in Loop: Header=BB1_19 Depth=1
	s_or_b64 exec, exec, s[12:13]
	s_and_saveexec_b64 s[6:7], s[10:11]
	s_cbranch_execnz .LBB1_282
	s_branch .LBB1_287
.LBB1_216:                              ;   in Loop: Header=BB1_19 Depth=1
	v_cndmask_b32_e64 v2, 0, 1, s[22:23]
	s_cbranch_execz .LBB1_18
	s_branch .LBB1_394
.LBB1_217:                              ;   in Loop: Header=BB1_19 Depth=1
	s_mov_b32 s8, 0xffff
	v_cmp_lt_i32_e32 vcc, s8, v32
	s_mov_b64 s[8:9], 0
	s_and_saveexec_b64 s[10:11], vcc
	s_xor_b64 s[10:11], exec, s[10:11]
	s_cbranch_execz .LBB1_221
; %bb.218:                              ;   in Loop: Header=BB1_19 Depth=1
	s_mov_b32 s8, 0x10000
	v_cmp_eq_u32_e32 vcc, s8, v32
	s_mov_b64 s[8:9], -1
	s_and_saveexec_b64 s[12:13], vcc
; %bb.219:                              ;   in Loop: Header=BB1_19 Depth=1
	s_xor_b64 s[8:9], exec, -1
; %bb.220:                              ;   in Loop: Header=BB1_19 Depth=1
	s_or_b64 exec, exec, s[12:13]
	s_and_b64 s[8:9], s[8:9], exec
.LBB1_221:                              ;   in Loop: Header=BB1_19 Depth=1
	s_or_saveexec_b64 s[10:11], s[10:11]
	v_mov_b32_e32 v0, 2
	v_mov_b32_e32 v1, 0
	s_xor_b64 exec, exec, s[10:11]
	s_cbranch_execz .LBB1_225
; %bb.222:                              ;   in Loop: Header=BB1_19 Depth=1
	v_cmp_eq_u32_e32 vcc, 1, v32
	s_mov_b64 s[12:13], -1
	s_and_saveexec_b64 s[52:53], vcc
; %bb.223:                              ;   in Loop: Header=BB1_19 Depth=1
	s_xor_b64 s[12:13], exec, -1
; %bb.224:                              ;   in Loop: Header=BB1_19 Depth=1
	s_or_b64 exec, exec, s[52:53]
	v_mov_b32_e32 v0, 1
	s_andn2_b64 s[8:9], s[8:9], exec
	s_and_b64 s[12:13], s[12:13], exec
	v_mov_b32_e32 v1, 0
	s_or_b64 s[8:9], s[8:9], s[12:13]
.LBB1_225:                              ;   in Loop: Header=BB1_19 Depth=1
	s_or_b64 exec, exec, s[10:11]
	s_and_b64 s[8:9], s[8:9], exec
	s_andn2_saveexec_b64 s[6:7], s[6:7]
	s_cbranch_execz .LBB1_211
.LBB1_226:                              ;   in Loop: Header=BB1_19 Depth=1
	v_cmp_ne_u32_e32 vcc, 0, v32
	v_mov_b32_e32 v33, v46
	s_andn2_b64 s[8:9], s[8:9], exec
	s_and_b64 s[10:11], vcc, exec
	v_mov_b32_e32 v0, v32
	s_or_b64 s[8:9], s[8:9], s[10:11]
	v_mov_b32_e32 v1, v33
	s_or_b64 exec, exec, s[6:7]
	s_and_saveexec_b64 s[6:7], s[8:9]
	s_cbranch_execnz .LBB1_212
	s_branch .LBB1_213
.LBB1_227:                              ;   in Loop: Header=BB1_19 Depth=1
	v_cmp_lt_i32_e32 vcc, 2, v4
	s_mov_b64 s[8:9], 0
                                        ; implicit-def: $vgpr3
	s_and_saveexec_b64 s[6:7], vcc
	s_xor_b64 s[52:53], exec, s[6:7]
	s_cbranch_execz .LBB1_251
; %bb.228:                              ;   in Loop: Header=BB1_19 Depth=1
	v_mul_f32_e32 v24, 0x3e800000, v24
	v_mul_f32_e32 v23, v24, v23
	v_cmp_lt_i32_e64 s[6:7], -1, v2
	s_and_saveexec_b64 s[10:11], s[6:7]
	s_cbranch_execz .LBB1_234
; %bb.229:                              ;   in Loop: Header=BB1_19 Depth=1
	v_cmp_gt_i32_e32 vcc, s58, v2
	v_cmp_lt_i32_e64 s[8:9], -1, v13
	s_and_b64 s[8:9], vcc, s[8:9]
	v_cmp_gt_i32_e32 vcc, s59, v13
	s_and_b64 s[8:9], s[8:9], vcc
	s_and_b64 exec, exec, s[8:9]
	s_cbranch_execz .LBB1_234
; %bb.230:                              ;   in Loop: Header=BB1_19 Depth=1
	v_lshlrev_b64 v[3:4], 3, v[0:1]
	v_readlane_b32 s8, v63, 0
	v_readlane_b32 s9, v63, 1
	v_mov_b32_e32 v6, s9
	v_add_co_u32_e32 v5, vcc, s8, v3
	v_addc_co_u32_e32 v6, vcc, v6, v4, vcc
	global_load_dwordx2 v[7:8], v[5:6], off
	v_mad_u64_u32 v[5:6], s[8:9], s58, v13, v[2:3]
	v_mov_b32_e32 v6, v46
	s_mov_b64 s[8:9], 0
	v_lshlrev_b64 v[5:6], 2, v[5:6]
	s_waitcnt vmcnt(0)
	v_add_co_u32_e32 v7, vcc, v7, v5
	v_addc_co_u32_e32 v8, vcc, v8, v6, vcc
	global_load_dword v10, v[7:8], off
.LBB1_231:                              ;   Parent Loop BB1_19 Depth=1
                                        ; =>  This Inner Loop Header: Depth=2
	s_waitcnt vmcnt(0)
	v_add_f32_e32 v9, v10, v24
	global_atomic_cmpswap v9, v[7:8], v[9:10], off glc
	s_waitcnt vmcnt(0)
	v_cmp_eq_u32_e32 vcc, v9, v10
	s_or_b64 s[8:9], vcc, s[8:9]
	v_mov_b32_e32 v10, v9
	s_andn2_b64 exec, exec, s[8:9]
	s_cbranch_execnz .LBB1_231
; %bb.232:                              ;   in Loop: Header=BB1_19 Depth=1
	s_or_b64 exec, exec, s[8:9]
	v_mov_b32_e32 v7, s63
	v_add_co_u32_e32 v3, vcc, s62, v3
	v_addc_co_u32_e32 v4, vcc, v7, v4, vcc
	global_load_dwordx2 v[3:4], v[3:4], off
	s_mov_b64 s[8:9], 0
	s_waitcnt vmcnt(0)
	v_add_co_u32_e32 v3, vcc, v3, v5
	v_addc_co_u32_e32 v4, vcc, v4, v6, vcc
	global_load_dword v6, v[3:4], off
.LBB1_233:                              ;   Parent Loop BB1_19 Depth=1
                                        ; =>  This Inner Loop Header: Depth=2
	s_waitcnt vmcnt(0)
	v_add_f32_e32 v5, v6, v23
	global_atomic_cmpswap v5, v[3:4], v[5:6], off glc
	s_waitcnt vmcnt(0)
	v_cmp_eq_u32_e32 vcc, v5, v6
	s_or_b64 s[8:9], vcc, s[8:9]
	v_mov_b32_e32 v6, v5
	s_andn2_b64 exec, exec, s[8:9]
	s_cbranch_execnz .LBB1_233
.LBB1_234:                              ;   in Loop: Header=BB1_19 Depth=1
	s_or_b64 exec, exec, s[10:11]
	v_add_u32_e32 v4, -1, v2
	v_cmp_lt_i32_e32 vcc, 0, v2
	s_and_saveexec_b64 s[54:55], vcc
	s_cbranch_execz .LBB1_240
; %bb.235:                              ;   in Loop: Header=BB1_19 Depth=1
	v_cmp_lt_i32_e64 s[10:11], -1, v13
	v_cmp_gt_i32_e64 s[12:13], s59, v13
	v_cmp_ge_i32_e64 s[8:9], s58, v2
	s_and_b64 s[10:11], s[10:11], s[12:13]
	s_and_b64 s[8:9], s[10:11], s[8:9]
	s_and_b64 exec, exec, s[8:9]
	s_cbranch_execz .LBB1_240
; %bb.236:                              ;   in Loop: Header=BB1_19 Depth=1
	v_lshlrev_b64 v[5:6], 3, v[0:1]
	v_readlane_b32 s8, v63, 0
	v_readlane_b32 s9, v63, 1
	v_mov_b32_e32 v3, s9
	v_add_co_u32_e64 v7, s[8:9], s8, v5
	v_addc_co_u32_e64 v8, s[8:9], v3, v6, s[8:9]
	global_load_dwordx2 v[9:10], v[7:8], off
	v_mad_u64_u32 v[7:8], s[8:9], s58, v13, v[4:5]
	v_mov_b32_e32 v8, v46
	s_mov_b64 s[10:11], 0
	v_lshlrev_b64 v[7:8], 2, v[7:8]
	s_waitcnt vmcnt(0)
	v_add_co_u32_e64 v9, s[8:9], v9, v7
	v_addc_co_u32_e64 v10, s[8:9], v10, v8, s[8:9]
	global_load_dword v12, v[9:10], off
.LBB1_237:                              ;   Parent Loop BB1_19 Depth=1
                                        ; =>  This Inner Loop Header: Depth=2
	s_waitcnt vmcnt(0)
	v_add_f32_e32 v11, v12, v24
	global_atomic_cmpswap v3, v[9:10], v[11:12], off glc
	s_waitcnt vmcnt(0)
	v_cmp_eq_u32_e64 s[8:9], v3, v12
	s_or_b64 s[10:11], s[8:9], s[10:11]
	v_mov_b32_e32 v12, v3
	s_andn2_b64 exec, exec, s[10:11]
	s_cbranch_execnz .LBB1_237
; %bb.238:                              ;   in Loop: Header=BB1_19 Depth=1
	s_or_b64 exec, exec, s[10:11]
	v_mov_b32_e32 v3, s63
	v_add_co_u32_e64 v5, s[8:9], s62, v5
	v_addc_co_u32_e64 v6, s[8:9], v3, v6, s[8:9]
	global_load_dwordx2 v[5:6], v[5:6], off
	s_mov_b64 s[10:11], 0
	s_waitcnt vmcnt(0)
	v_add_co_u32_e64 v5, s[8:9], v5, v7
	v_addc_co_u32_e64 v6, s[8:9], v6, v8, s[8:9]
	global_load_dword v8, v[5:6], off
.LBB1_239:                              ;   Parent Loop BB1_19 Depth=1
                                        ; =>  This Inner Loop Header: Depth=2
	s_waitcnt vmcnt(0)
	v_add_f32_e32 v7, v8, v23
	global_atomic_cmpswap v3, v[5:6], v[7:8], off glc
	s_waitcnt vmcnt(0)
	v_cmp_eq_u32_e64 s[8:9], v3, v8
	s_or_b64 s[10:11], s[8:9], s[10:11]
	v_mov_b32_e32 v8, v3
	s_andn2_b64 exec, exec, s[10:11]
	s_cbranch_execnz .LBB1_239
.LBB1_240:                              ;   in Loop: Header=BB1_19 Depth=1
	s_or_b64 exec, exec, s[54:55]
	v_add_u32_e32 v14, -1, v13
	s_and_saveexec_b64 s[10:11], s[6:7]
	s_cbranch_execz .LBB1_246
; %bb.241:                              ;   in Loop: Header=BB1_19 Depth=1
	v_cmp_gt_i32_e64 s[6:7], s58, v2
	v_cmp_lt_i32_e64 s[8:9], 0, v13
	s_and_b64 s[8:9], s[6:7], s[8:9]
	v_cmp_ge_i32_e64 s[6:7], s59, v13
	s_and_b64 s[6:7], s[8:9], s[6:7]
	s_and_b64 exec, exec, s[6:7]
	s_cbranch_execz .LBB1_246
; %bb.242:                              ;   in Loop: Header=BB1_19 Depth=1
	v_lshlrev_b64 v[5:6], 3, v[0:1]
	v_readlane_b32 s6, v63, 0
	v_readlane_b32 s7, v63, 1
	v_mov_b32_e32 v3, s7
	v_add_co_u32_e64 v7, s[6:7], s6, v5
	v_addc_co_u32_e64 v8, s[6:7], v3, v6, s[6:7]
	global_load_dwordx2 v[9:10], v[7:8], off
	v_mad_u64_u32 v[7:8], s[6:7], v14, s58, v[2:3]
	v_mov_b32_e32 v8, v46
	s_mov_b64 s[8:9], 0
	v_lshlrev_b64 v[7:8], 2, v[7:8]
	s_waitcnt vmcnt(0)
	v_add_co_u32_e64 v9, s[6:7], v9, v7
	v_addc_co_u32_e64 v10, s[6:7], v10, v8, s[6:7]
	global_load_dword v12, v[9:10], off
.LBB1_243:                              ;   Parent Loop BB1_19 Depth=1
                                        ; =>  This Inner Loop Header: Depth=2
	s_waitcnt vmcnt(0)
	v_add_f32_e32 v11, v12, v24
	global_atomic_cmpswap v3, v[9:10], v[11:12], off glc
	s_waitcnt vmcnt(0)
	v_cmp_eq_u32_e64 s[6:7], v3, v12
	s_or_b64 s[8:9], s[6:7], s[8:9]
	v_mov_b32_e32 v12, v3
	s_andn2_b64 exec, exec, s[8:9]
	s_cbranch_execnz .LBB1_243
; %bb.244:                              ;   in Loop: Header=BB1_19 Depth=1
	s_or_b64 exec, exec, s[8:9]
	v_mov_b32_e32 v3, s63
	v_add_co_u32_e64 v5, s[6:7], s62, v5
	v_addc_co_u32_e64 v6, s[6:7], v3, v6, s[6:7]
	global_load_dwordx2 v[5:6], v[5:6], off
	s_mov_b64 s[8:9], 0
	s_waitcnt vmcnt(0)
	v_add_co_u32_e64 v5, s[6:7], v5, v7
	v_addc_co_u32_e64 v6, s[6:7], v6, v8, s[6:7]
	global_load_dword v8, v[5:6], off
.LBB1_245:                              ;   Parent Loop BB1_19 Depth=1
                                        ; =>  This Inner Loop Header: Depth=2
	s_waitcnt vmcnt(0)
	v_add_f32_e32 v7, v8, v23
	global_atomic_cmpswap v3, v[5:6], v[7:8], off glc
	s_waitcnt vmcnt(0)
	v_cmp_eq_u32_e64 s[6:7], v3, v8
	s_or_b64 s[8:9], s[6:7], s[8:9]
	v_mov_b32_e32 v8, v3
	s_andn2_b64 exec, exec, s[8:9]
	s_cbranch_execnz .LBB1_245
.LBB1_246:                              ;   in Loop: Header=BB1_19 Depth=1
	s_or_b64 exec, exec, s[10:11]
	s_mov_b64 s[6:7], 0
                                        ; implicit-def: $vgpr3
	s_and_saveexec_b64 s[10:11], vcc
	s_cbranch_execz .LBB1_250
; %bb.247:                              ;   in Loop: Header=BB1_19 Depth=1
	v_cmp_ge_i32_e32 vcc, s58, v2
	v_cmp_ge_i32_e64 s[8:9], s59, v13
	v_cmp_lt_i32_e64 s[6:7], 0, v13
	s_and_b64 s[8:9], vcc, s[8:9]
	s_and_b64 s[8:9], s[8:9], s[6:7]
	s_mov_b64 s[6:7], 0
                                        ; implicit-def: $vgpr3
	s_and_saveexec_b64 s[12:13], s[8:9]
	s_xor_b64 s[8:9], exec, s[12:13]
; %bb.248:                              ;   in Loop: Header=BB1_19 Depth=1
	v_mad_u64_u32 v[3:4], s[6:7], v14, s58, v[4:5]
	s_mov_b64 s[6:7], exec
; %bb.249:                              ;   in Loop: Header=BB1_19 Depth=1
	s_or_b64 exec, exec, s[8:9]
	s_and_b64 s[6:7], s[6:7], exec
.LBB1_250:                              ;   in Loop: Header=BB1_19 Depth=1
	s_or_b64 exec, exec, s[10:11]
	s_and_b64 s[8:9], s[6:7], exec
                                        ; implicit-def: $vgpr2
                                        ; implicit-def: $vgpr13
.LBB1_251:                              ;   in Loop: Header=BB1_19 Depth=1
	s_andn2_saveexec_b64 s[10:11], s[52:53]
	s_cbranch_execz .LBB1_262
; %bb.252:                              ;   in Loop: Header=BB1_19 Depth=1
	v_mul_f32_e32 v24, 0.5, v24
	v_mul_f32_e32 v23, v24, v23
	v_cmp_lt_i32_e32 vcc, -1, v2
	s_mov_b64 s[6:7], s[8:9]
                                        ; implicit-def: $vgpr3
	s_and_saveexec_b64 s[12:13], vcc
	s_cbranch_execz .LBB1_261
; %bb.253:                              ;   in Loop: Header=BB1_19 Depth=1
	v_cmp_gt_i32_e32 vcc, s58, v2
	v_cmp_lt_i32_e64 s[6:7], -1, v13
	s_and_b64 s[52:53], vcc, s[6:7]
	v_cmp_gt_i32_e64 s[6:7], s59, v13
	s_and_b64 s[6:7], s[52:53], s[6:7]
	s_and_saveexec_b64 s[52:53], s[6:7]
	s_cbranch_execz .LBB1_258
; %bb.254:                              ;   in Loop: Header=BB1_19 Depth=1
	v_lshlrev_b64 v[3:4], 3, v[0:1]
	v_readlane_b32 s6, v63, 0
	v_readlane_b32 s7, v63, 1
	v_mov_b32_e32 v6, s7
	v_add_co_u32_e64 v5, s[6:7], s6, v3
	v_addc_co_u32_e64 v6, s[6:7], v6, v4, s[6:7]
	global_load_dwordx2 v[7:8], v[5:6], off
	v_mad_u64_u32 v[5:6], s[6:7], s58, v13, v[2:3]
	v_mov_b32_e32 v6, v46
	s_mov_b64 s[54:55], 0
	v_lshlrev_b64 v[5:6], 2, v[5:6]
	s_waitcnt vmcnt(0)
	v_add_co_u32_e64 v7, s[6:7], v7, v5
	v_addc_co_u32_e64 v8, s[6:7], v8, v6, s[6:7]
	global_load_dword v10, v[7:8], off
.LBB1_255:                              ;   Parent Loop BB1_19 Depth=1
                                        ; =>  This Inner Loop Header: Depth=2
	s_waitcnt vmcnt(0)
	v_add_f32_e32 v9, v10, v24
	global_atomic_cmpswap v9, v[7:8], v[9:10], off glc
	s_waitcnt vmcnt(0)
	v_cmp_eq_u32_e64 s[6:7], v9, v10
	s_or_b64 s[54:55], s[6:7], s[54:55]
	v_mov_b32_e32 v10, v9
	s_andn2_b64 exec, exec, s[54:55]
	s_cbranch_execnz .LBB1_255
; %bb.256:                              ;   in Loop: Header=BB1_19 Depth=1
	s_or_b64 exec, exec, s[54:55]
	v_mov_b32_e32 v7, s63
	v_add_co_u32_e64 v3, s[6:7], s62, v3
	v_addc_co_u32_e64 v4, s[6:7], v7, v4, s[6:7]
	global_load_dwordx2 v[3:4], v[3:4], off
	s_mov_b64 s[54:55], 0
	s_waitcnt vmcnt(0)
	v_add_co_u32_e64 v3, s[6:7], v3, v5
	v_addc_co_u32_e64 v4, s[6:7], v4, v6, s[6:7]
	global_load_dword v6, v[3:4], off
.LBB1_257:                              ;   Parent Loop BB1_19 Depth=1
                                        ; =>  This Inner Loop Header: Depth=2
	s_waitcnt vmcnt(0)
	v_add_f32_e32 v5, v6, v23
	global_atomic_cmpswap v5, v[3:4], v[5:6], off glc
	s_waitcnt vmcnt(0)
	v_cmp_eq_u32_e64 s[6:7], v5, v6
	s_or_b64 s[54:55], s[6:7], s[54:55]
	v_mov_b32_e32 v6, v5
	s_andn2_b64 exec, exec, s[54:55]
	s_cbranch_execnz .LBB1_257
.LBB1_258:                              ;   in Loop: Header=BB1_19 Depth=1
	s_or_b64 exec, exec, s[52:53]
	v_cmp_lt_i32_e64 s[6:7], 0, v13
	s_and_b64 s[6:7], vcc, s[6:7]
	v_cmp_ge_i32_e32 vcc, s59, v13
	s_and_b64 s[52:53], s[6:7], vcc
	s_mov_b64 s[6:7], s[8:9]
                                        ; implicit-def: $vgpr3
	s_and_saveexec_b64 s[54:55], s[52:53]
	s_xor_b64 s[52:53], exec, s[54:55]
; %bb.259:                              ;   in Loop: Header=BB1_19 Depth=1
	v_add_u32_e32 v3, -1, v13
	v_mad_u64_u32 v[3:4], s[6:7], v3, s58, v[2:3]
	s_or_b64 s[6:7], s[8:9], exec
; %bb.260:                              ;   in Loop: Header=BB1_19 Depth=1
	s_or_b64 exec, exec, s[52:53]
	s_andn2_b64 s[52:53], s[8:9], exec
	s_and_b64 s[6:7], s[6:7], exec
	s_or_b64 s[6:7], s[52:53], s[6:7]
.LBB1_261:                              ;   in Loop: Header=BB1_19 Depth=1
	s_or_b64 exec, exec, s[12:13]
	s_andn2_b64 s[8:9], s[8:9], exec
	s_and_b64 s[6:7], s[6:7], exec
	s_or_b64 s[8:9], s[8:9], s[6:7]
.LBB1_262:                              ;   in Loop: Header=BB1_19 Depth=1
	s_or_b64 exec, exec, s[10:11]
	s_and_b64 s[10:11], s[8:9], exec
	v_mov_b32_e32 v8, v23
                                        ; implicit-def: $vgpr4
                                        ; implicit-def: $vgpr2
                                        ; implicit-def: $vgpr13
	s_andn2_saveexec_b64 s[12:13], s[84:85]
	s_cbranch_execz .LBB1_215
.LBB1_263:                              ;   in Loop: Header=BB1_19 Depth=1
	v_cmp_ne_u32_e32 vcc, 1, v4
	s_mov_b64 s[52:53], s[10:11]
                                        ; implicit-def: $vgpr8
                                        ; implicit-def: $vgpr3
	s_and_saveexec_b64 s[6:7], vcc
	s_xor_b64 s[8:9], exec, s[6:7]
	s_cbranch_execz .LBB1_269
; %bb.264:                              ;   in Loop: Header=BB1_19 Depth=1
	v_cmp_lt_i32_e32 vcc, -1, v2
	s_mov_b64 s[6:7], s[10:11]
                                        ; implicit-def: $vgpr8
                                        ; implicit-def: $vgpr3
	s_and_saveexec_b64 s[52:53], vcc
	s_cbranch_execz .LBB1_268
; %bb.265:                              ;   in Loop: Header=BB1_19 Depth=1
	v_cmp_gt_i32_e32 vcc, s58, v2
	v_cmp_lt_i32_e64 s[6:7], -1, v13
	s_and_b64 s[6:7], vcc, s[6:7]
	v_cmp_gt_i32_e32 vcc, s59, v13
	s_and_b64 s[84:85], s[6:7], vcc
	s_mov_b64 s[6:7], s[10:11]
                                        ; implicit-def: $vgpr8
                                        ; implicit-def: $vgpr3
	s_and_saveexec_b64 s[54:55], s[84:85]
; %bb.266:                              ;   in Loop: Header=BB1_19 Depth=1
	v_mad_u64_u32 v[3:4], s[6:7], s58, v13, v[2:3]
	v_mul_f32_e32 v8, v24, v23
	s_or_b64 s[6:7], s[10:11], exec
; %bb.267:                              ;   in Loop: Header=BB1_19 Depth=1
	s_or_b64 exec, exec, s[54:55]
	s_andn2_b64 s[54:55], s[10:11], exec
	s_and_b64 s[6:7], s[6:7], exec
	s_or_b64 s[6:7], s[54:55], s[6:7]
.LBB1_268:                              ;   in Loop: Header=BB1_19 Depth=1
	s_or_b64 exec, exec, s[52:53]
	s_andn2_b64 s[52:53], s[10:11], exec
	s_and_b64 s[6:7], s[6:7], exec
	s_or_b64 s[52:53], s[52:53], s[6:7]
                                        ; implicit-def: $vgpr2
                                        ; implicit-def: $vgpr13
.LBB1_269:                              ;   in Loop: Header=BB1_19 Depth=1
	s_andn2_saveexec_b64 s[54:55], s[8:9]
	s_cbranch_execz .LBB1_281
; %bb.270:                              ;   in Loop: Header=BB1_19 Depth=1
	v_mul_f32_e32 v24, 0.5, v24
	v_mul_f32_e32 v23, v24, v23
	v_cmp_lt_i32_e32 vcc, -1, v2
	s_and_saveexec_b64 s[8:9], vcc
	s_cbranch_execz .LBB1_276
; %bb.271:                              ;   in Loop: Header=BB1_19 Depth=1
	v_cmp_gt_i32_e32 vcc, s58, v2
	v_cmp_lt_i32_e64 s[6:7], -1, v13
	s_and_b64 s[6:7], vcc, s[6:7]
	v_cmp_gt_i32_e32 vcc, s59, v13
	s_and_b64 s[6:7], s[6:7], vcc
	s_and_b64 exec, exec, s[6:7]
	s_cbranch_execz .LBB1_276
; %bb.272:                              ;   in Loop: Header=BB1_19 Depth=1
	v_lshlrev_b64 v[3:4], 3, v[0:1]
	v_readlane_b32 s6, v63, 0
	v_readlane_b32 s7, v63, 1
	v_mov_b32_e32 v6, s7
	v_add_co_u32_e32 v5, vcc, s6, v3
	v_addc_co_u32_e32 v6, vcc, v6, v4, vcc
	global_load_dwordx2 v[7:8], v[5:6], off
	v_mad_u64_u32 v[5:6], s[6:7], s58, v13, v[2:3]
	v_mov_b32_e32 v6, v46
	s_mov_b64 s[6:7], 0
	v_lshlrev_b64 v[5:6], 2, v[5:6]
	s_waitcnt vmcnt(0)
	v_add_co_u32_e32 v7, vcc, v7, v5
	v_addc_co_u32_e32 v8, vcc, v8, v6, vcc
	global_load_dword v10, v[7:8], off
.LBB1_273:                              ;   Parent Loop BB1_19 Depth=1
                                        ; =>  This Inner Loop Header: Depth=2
	s_waitcnt vmcnt(0)
	v_add_f32_e32 v9, v10, v24
	global_atomic_cmpswap v9, v[7:8], v[9:10], off glc
	s_waitcnt vmcnt(0)
	v_cmp_eq_u32_e32 vcc, v9, v10
	s_or_b64 s[6:7], vcc, s[6:7]
	v_mov_b32_e32 v10, v9
	s_andn2_b64 exec, exec, s[6:7]
	s_cbranch_execnz .LBB1_273
; %bb.274:                              ;   in Loop: Header=BB1_19 Depth=1
	s_or_b64 exec, exec, s[6:7]
	v_mov_b32_e32 v7, s63
	v_add_co_u32_e32 v3, vcc, s62, v3
	v_addc_co_u32_e32 v4, vcc, v7, v4, vcc
	global_load_dwordx2 v[3:4], v[3:4], off
	s_mov_b64 s[6:7], 0
	s_waitcnt vmcnt(0)
	v_add_co_u32_e32 v3, vcc, v3, v5
	v_addc_co_u32_e32 v4, vcc, v4, v6, vcc
	global_load_dword v6, v[3:4], off
.LBB1_275:                              ;   Parent Loop BB1_19 Depth=1
                                        ; =>  This Inner Loop Header: Depth=2
	s_waitcnt vmcnt(0)
	v_add_f32_e32 v5, v6, v23
	global_atomic_cmpswap v5, v[3:4], v[5:6], off glc
	s_waitcnt vmcnt(0)
	v_cmp_eq_u32_e32 vcc, v5, v6
	s_or_b64 s[6:7], vcc, s[6:7]
	v_mov_b32_e32 v6, v5
	s_andn2_b64 exec, exec, s[6:7]
	s_cbranch_execnz .LBB1_275
.LBB1_276:                              ;   in Loop: Header=BB1_19 Depth=1
	s_or_b64 exec, exec, s[8:9]
	v_cmp_lt_i32_e32 vcc, 0, v2
	s_mov_b64 s[6:7], s[52:53]
                                        ; implicit-def: $vgpr3
	s_and_saveexec_b64 s[84:85], vcc
	s_cbranch_execz .LBB1_280
; %bb.277:                              ;   in Loop: Header=BB1_19 Depth=1
	v_cmp_lt_i32_e64 s[6:7], -1, v13
	v_cmp_gt_i32_e64 s[8:9], s59, v13
	v_cmp_ge_i32_e32 vcc, s58, v2
	s_and_b64 s[6:7], s[6:7], s[8:9]
	s_and_b64 vcc, s[6:7], vcc
	s_mov_b64 s[6:7], s[52:53]
                                        ; implicit-def: $vgpr3
	s_and_saveexec_b64 s[8:9], vcc
; %bb.278:                              ;   in Loop: Header=BB1_19 Depth=1
	v_mul_lo_u32 v3, s58, v13
	s_or_b64 s[6:7], s[52:53], exec
	v_add3_u32 v3, v2, v3, -1
; %bb.279:                              ;   in Loop: Header=BB1_19 Depth=1
	s_or_b64 exec, exec, s[8:9]
	s_andn2_b64 s[8:9], s[52:53], exec
	s_and_b64 s[6:7], s[6:7], exec
	s_or_b64 s[6:7], s[8:9], s[6:7]
.LBB1_280:                              ;   in Loop: Header=BB1_19 Depth=1
	s_or_b64 exec, exec, s[84:85]
	s_andn2_b64 s[8:9], s[52:53], exec
	s_and_b64 s[6:7], s[6:7], exec
	s_or_b64 s[52:53], s[8:9], s[6:7]
	v_mov_b32_e32 v8, v23
.LBB1_281:                              ;   in Loop: Header=BB1_19 Depth=1
	s_or_b64 exec, exec, s[54:55]
	s_andn2_b64 s[6:7], s[10:11], exec
	s_and_b64 s[8:9], s[52:53], exec
	s_or_b64 s[10:11], s[6:7], s[8:9]
	s_or_b64 exec, exec, s[12:13]
	s_and_saveexec_b64 s[6:7], s[10:11]
	s_cbranch_execz .LBB1_287
.LBB1_282:                              ;   in Loop: Header=BB1_19 Depth=1
	v_lshlrev_b64 v[0:1], 3, v[0:1]
	v_readlane_b32 s8, v63, 0
	v_readlane_b32 s9, v63, 1
	v_mov_b32_e32 v2, s9
	v_add_co_u32_e32 v4, vcc, s8, v0
	v_addc_co_u32_e32 v5, vcc, v2, v1, vcc
	global_load_dwordx2 v[5:6], v[4:5], off
	v_mov_b32_e32 v4, v46
	v_lshlrev_b64 v[2:3], 2, v[3:4]
	s_mov_b64 s[8:9], 0
	s_waitcnt vmcnt(0)
	v_add_co_u32_e32 v4, vcc, v5, v2
	v_addc_co_u32_e32 v5, vcc, v6, v3, vcc
	global_load_dword v7, v[4:5], off
.LBB1_283:                              ;   Parent Loop BB1_19 Depth=1
                                        ; =>  This Inner Loop Header: Depth=2
	s_waitcnt vmcnt(0)
	v_add_f32_e32 v6, v7, v24
	global_atomic_cmpswap v6, v[4:5], v[6:7], off glc
	s_waitcnt vmcnt(0)
	v_cmp_eq_u32_e32 vcc, v6, v7
	s_or_b64 s[8:9], vcc, s[8:9]
	v_mov_b32_e32 v7, v6
	s_andn2_b64 exec, exec, s[8:9]
	s_cbranch_execnz .LBB1_283
; %bb.284:                              ;   in Loop: Header=BB1_19 Depth=1
	s_or_b64 exec, exec, s[8:9]
	v_mov_b32_e32 v4, s63
	v_add_co_u32_e32 v0, vcc, s62, v0
	v_addc_co_u32_e32 v1, vcc, v4, v1, vcc
	global_load_dwordx2 v[0:1], v[0:1], off
	s_mov_b64 s[8:9], 0
	s_waitcnt vmcnt(0)
	v_add_co_u32_e32 v0, vcc, v0, v2
	v_addc_co_u32_e32 v1, vcc, v1, v3, vcc
	global_load_dword v3, v[0:1], off
.LBB1_285:                              ;   Parent Loop BB1_19 Depth=1
                                        ; =>  This Inner Loop Header: Depth=2
	s_waitcnt vmcnt(0)
	v_add_f32_e32 v2, v3, v8
	global_atomic_cmpswap v2, v[0:1], v[2:3], off glc
	s_waitcnt vmcnt(0)
	v_cmp_eq_u32_e32 vcc, v2, v3
	s_or_b64 s[8:9], vcc, s[8:9]
	v_mov_b32_e32 v3, v2
	s_andn2_b64 exec, exec, s[8:9]
	s_cbranch_execnz .LBB1_285
; %bb.286:                              ;   in Loop: Header=BB1_19 Depth=1
	s_or_b64 exec, exec, s[8:9]
.LBB1_287:                              ;   in Loop: Header=BB1_19 Depth=1
	s_or_b64 exec, exec, s[6:7]
.LBB1_288:                              ;   in Loop: Header=BB1_19 Depth=1
	s_or_b64 exec, exec, s[30:31]
.LBB1_289:                              ;   in Loop: Header=BB1_19 Depth=1
	s_or_b64 exec, exec, s[22:23]
	v_mov_b32_e32 v45, 8
.LBB1_290:                              ;   in Loop: Header=BB1_19 Depth=1
	s_or_b64 exec, exec, s[20:21]
	v_cndmask_b32_e64 v0, 0, 1, s[4:5]
	v_cmp_ne_u32_e32 vcc, 0, v0
	s_and_saveexec_b64 s[6:7], s[18:19]
	s_cbranch_execz .LBB1_292
; %bb.291:                              ;   in Loop: Header=BB1_19 Depth=1
	buffer_load_dword v1, off, s[0:3], 0 offset:304 ; 4-byte Folded Reload
	buffer_load_dword v2, off, s[0:3], 0 offset:308 ; 4-byte Folded Reload
	s_bcnt1_i32_b32 s8, vcc_lo
	s_waitcnt vmcnt(0)
	flat_load_dword v0, v[1:2] glc
	s_waitcnt vmcnt(0) lgkmcnt(0)
	v_add_u32_e32 v0, s8, v0
	flat_store_dword v[1:2], v0
	s_waitcnt vmcnt(0)
	flat_load_dword v0, v[55:56] glc
	s_waitcnt vmcnt(0) lgkmcnt(0)
	v_add_u32_e32 v0, 1, v0
	flat_store_dword v[55:56], v0
	s_waitcnt vmcnt(0)
.LBB1_292:                              ;   in Loop: Header=BB1_19 Depth=1
	s_or_b64 exec, exec, s[6:7]
.LBB1_293:                              ;   in Loop: Header=BB1_19 Depth=1
	s_or_b64 s[84:85], s[14:15], s[4:5]
	v_cndmask_b32_e64 v0, 0, 1, s[84:85]
	v_cmp_ne_u32_e32 vcc, 0, v0
	s_cmp_eq_u64 vcc, exec
	s_cbranch_scc1 .LBB1_319
; %bb.294:                              ;   in Loop: Header=BB1_19 Depth=1
	v_mov_b32_e32 v0, 4
	v_cmp_eq_u16_sdwa s[20:21], v45, v0 src0_sel:BYTE_0 src1_sel:DWORD
	s_mov_b64 vcc, s[20:21]
	s_cbranch_vccz .LBB1_333
; %bb.295:                              ;   in Loop: Header=BB1_19 Depth=1
	s_mov_b32 s6, 0x3f02d11e
	v_div_scale_f32 v0, s[4:5], s6, s6, v23
	s_xor_b64 s[52:53], s[20:21], -1
	v_mov_b32_e32 v25, 0
	v_mov_b32_e32 v42, 0
	;; [unrolled: 1-line block ×3, first 2 shown]
	v_rcp_f32_e32 v1, v0
	v_fma_f32 v2, -v0, v1, 1.0
	v_fmac_f32_e32 v1, v2, v1
	v_div_scale_f32 v2, vcc, v23, s6, v23
	v_mul_f32_e32 v3, v2, v1
	v_fma_f32 v4, -v0, v3, v2
	v_fmac_f32_e32 v3, v4, v1
	v_fma_f32 v0, -v0, v3, v2
	v_div_fmas_f32 v0, v0, v1, v3
	v_div_fixup_f32 v29, v0, s6, v23
	v_fma_f32 v0, v29, 2.0, 1.0
	v_div_scale_f32 v1, s[4:5], v0, v0, 1.0
	v_cmp_nlt_f32_e64 s[22:23], 2.0, v29
	v_mul_f32_e32 v38, v0, v0
	v_rcp_f32_e32 v2, v1
	v_fma_f32 v3, -v1, v2, 1.0
	v_fmac_f32_e32 v2, v3, v2
	v_div_scale_f32 v3, vcc, 1.0, v0, 1.0
	v_mul_f32_e32 v4, v3, v2
	v_fma_f32 v5, -v1, v4, v3
	v_fmac_f32_e32 v4, v5, v2
	v_fma_f32 v1, -v1, v4, v3
	v_div_fmas_f32 v1, v1, v2, v4
	v_cmp_gt_f32_e32 vcc, s66, v0
	v_div_fixup_f32 v30, v1, v0, 1.0
	v_cndmask_b32_e64 v1, 0, 32, vcc
	v_ldexp_f32 v1, v0, v1
	v_log_f32_e32 v1, v1
	v_add_f32_e32 v33, v0, v30
	v_mul_f32_e32 v2, 0x3f317217, v1
	v_fma_f32 v2, v1, s27, -v2
	v_fmac_f32_e32 v2, 0x3377d1cf, v1
	v_fmac_f32_e32 v2, 0x3f317217, v1
	v_cmp_lt_f32_e64 s[4:5], |v1|, s86
	v_cndmask_b32_e64 v1, v1, v2, s[4:5]
	v_cndmask_b32_e32 v2, 0, v22, vcc
	v_sub_f32_e32 v36, v1, v2
	v_add_f32_e32 v1, 1.0, v0
	v_mul_f32_e32 v1, v29, v1
	v_mul_f32_e32 v1, v30, v1
	v_fma_f32 v37, v30, v1, v36
	s_branch .LBB1_299
.LBB1_296:                              ;   in Loop: Header=BB1_299 Depth=2
	s_or_b64 exec, exec, s[4:5]
	v_mul_f32_e32 v25, v30, v1
	v_fma_f32 v1, -v30, v1, 1.0
	v_mul_f32_e32 v2, v29, v25
	v_div_scale_f32 v3, s[4:5], v2, v2, v1
	v_div_scale_f32 v4, vcc, v1, v2, v1
	s_andn2_b64 s[4:5], s[8:9], exec
	v_rcp_f32_e32 v5, v3
	v_fma_f32 v6, -v3, v5, 1.0
	v_fmac_f32_e32 v5, v6, v5
	v_mul_f32_e32 v6, v4, v5
	v_fma_f32 v7, -v3, v6, v4
	v_fmac_f32_e32 v6, v7, v5
	v_fma_f32 v3, -v3, v6, v4
	v_div_fmas_f32 v3, v3, v5, v6
	v_fma_f32 v4, v25, v25, 1.0
	s_waitcnt lgkmcnt(0)
	v_mul_f32_e32 v0, v0, v4
	v_div_fixup_f32 v42, v3, v2, v1
	v_sub_f32_e32 v1, 2.0, v42
	v_mul_f32_e32 v1, v42, v1
	v_max_f32_e32 v60, 0, v1
	v_fma_f32 v1, -v25, v60, v4
	v_cmp_lt_f32_e32 vcc, v0, v1
	s_and_b64 s[8:9], vcc, exec
	s_or_b64 s[8:9], s[4:5], s[8:9]
.LBB1_297:                              ;   in Loop: Header=BB1_299 Depth=2
	s_or_b64 exec, exec, s[10:11]
	s_orn2_b64 s[52:53], s[8:9], exec
.LBB1_298:                              ;   in Loop: Header=BB1_299 Depth=2
	s_or_b64 exec, exec, s[6:7]
	v_cndmask_b32_e64 v0, 0, 1, s[52:53]
	v_cmp_ne_u32_e32 vcc, 0, v0
	s_cmp_lg_u64 vcc, exec
	s_cbranch_scc0 .LBB1_320
.LBB1_299:                              ;   Parent Loop BB1_19 Depth=1
                                        ; =>  This Inner Loop Header: Depth=2
	flat_load_ubyte v0, v[51:52] glc
	s_waitcnt vmcnt(0) lgkmcnt(0)
	v_cmp_lt_u32_e32 vcc, 1, v0
	v_add_u32_e32 v0, 1, v0
	s_and_saveexec_b64 s[54:55], vcc
	s_cbranch_execz .LBB1_301
; %bb.300:                              ;   in Loop: Header=BB1_299 Depth=2
	s_add_u32 s8, s16, 8
	s_addc_u32 s9, s17, 0
	s_getpc_b64 s[4:5]
	s_add_u32 s4, s4, _Z17MT_generate_arrayv@rel32@lo+4
	s_addc_u32 s5, s5, _Z17MT_generate_arrayv@rel32@hi+12
	s_swappc_b64 s[30:31], s[4:5]
	v_mov_b32_e32 v0, 0
.LBB1_301:                              ;   in Loop: Header=BB1_299 Depth=2
	s_or_b64 exec, exec, s[54:55]
	s_and_saveexec_b64 s[4:5], s[18:19]
	s_cbranch_execz .LBB1_303
; %bb.302:                              ;   in Loop: Header=BB1_299 Depth=2
	flat_store_byte v[51:52], v0
	s_waitcnt vmcnt(0)
.LBB1_303:                              ;   in Loop: Header=BB1_299 Depth=2
	s_or_b64 exec, exec, s[4:5]
	v_lshl_add_u32 v0, v0, 7, v57
	ds_read_b32 v62, v0
	flat_load_ubyte v0, v[51:52] glc
	s_waitcnt vmcnt(0) lgkmcnt(0)
	v_cmp_lt_u32_e32 vcc, 1, v0
	v_add_u32_e32 v0, 1, v0
	s_and_saveexec_b64 s[54:55], vcc
	s_cbranch_execz .LBB1_305
; %bb.304:                              ;   in Loop: Header=BB1_299 Depth=2
	s_add_u32 s8, s16, 8
	s_addc_u32 s9, s17, 0
	s_getpc_b64 s[4:5]
	s_add_u32 s4, s4, _Z17MT_generate_arrayv@rel32@lo+4
	s_addc_u32 s5, s5, _Z17MT_generate_arrayv@rel32@hi+12
	s_swappc_b64 s[30:31], s[4:5]
	v_mov_b32_e32 v0, 0
.LBB1_305:                              ;   in Loop: Header=BB1_299 Depth=2
	s_or_b64 exec, exec, s[54:55]
	s_and_saveexec_b64 s[4:5], s[18:19]
	s_cbranch_execz .LBB1_307
; %bb.306:                              ;   in Loop: Header=BB1_299 Depth=2
	flat_store_byte v[51:52], v0
	s_waitcnt vmcnt(0)
.LBB1_307:                              ;   in Loop: Header=BB1_299 Depth=2
	s_or_b64 exec, exec, s[4:5]
	v_lshl_add_u32 v0, v0, 7, v57
	ds_read_b32 v61, v0
	flat_load_ubyte v0, v[51:52] glc
	s_waitcnt vmcnt(0) lgkmcnt(0)
	v_cmp_lt_u32_e32 vcc, 1, v0
	v_add_u32_e32 v0, 1, v0
	s_and_saveexec_b64 s[54:55], vcc
	s_cbranch_execz .LBB1_309
; %bb.308:                              ;   in Loop: Header=BB1_299 Depth=2
	s_add_u32 s8, s16, 8
	s_addc_u32 s9, s17, 0
	s_getpc_b64 s[4:5]
	s_add_u32 s4, s4, _Z17MT_generate_arrayv@rel32@lo+4
	s_addc_u32 s5, s5, _Z17MT_generate_arrayv@rel32@hi+12
	s_swappc_b64 s[30:31], s[4:5]
	v_mov_b32_e32 v0, 0
.LBB1_309:                              ;   in Loop: Header=BB1_299 Depth=2
	s_or_b64 exec, exec, s[54:55]
	s_and_saveexec_b64 s[4:5], s[18:19]
	s_cbranch_execz .LBB1_311
; %bb.310:                              ;   in Loop: Header=BB1_299 Depth=2
	flat_store_byte v[51:52], v0
	s_waitcnt vmcnt(0)
.LBB1_311:                              ;   in Loop: Header=BB1_299 Depth=2
	s_or_b64 exec, exec, s[4:5]
	s_xor_b64 s[4:5], s[52:53], -1
	s_mov_b64 s[52:53], -1
	s_and_saveexec_b64 s[6:7], s[4:5]
	s_cbranch_execz .LBB1_298
; %bb.312:                              ;   in Loop: Header=BB1_299 Depth=2
                                        ; implicit-def: $sgpr8_sgpr9
                                        ; implicit-def: $vgpr60
                                        ; implicit-def: $vgpr42
                                        ; implicit-def: $vgpr25
	s_and_saveexec_b64 s[4:5], s[22:23]
	s_xor_b64 s[4:5], exec, s[4:5]
	s_cbranch_execz .LBB1_314
; %bb.313:                              ;   in Loop: Header=BB1_299 Depth=2
	v_sub_f32_e32 v0, 1.0, v30
	v_fma_f32 v25, v0, v62, v30
	v_sub_f32_e32 v0, 1.0, v25
	v_mul_f32_e32 v1, v29, v25
	v_div_scale_f32 v2, s[8:9], v1, v1, v0
	v_div_scale_f32 v3, vcc, v0, v1, v0
                                        ; implicit-def: $vgpr62
	v_rcp_f32_e32 v4, v2
	v_fma_f32 v5, -v2, v4, 1.0
	v_fmac_f32_e32 v4, v5, v4
	v_mul_f32_e32 v5, v3, v4
	v_fma_f32 v6, -v2, v5, v3
	v_fmac_f32_e32 v5, v6, v4
	v_fma_f32 v2, -v2, v5, v3
	v_div_fmas_f32 v2, v2, v4, v5
	v_fma_f32 v3, v25, v25, 1.0
	v_mul_f32_e32 v4, v25, v61
                                        ; implicit-def: $vgpr61
	v_div_fixup_f32 v42, v2, v1, v0
	v_sub_f32_e32 v0, 2.0, v42
	v_mul_f32_e32 v0, v42, v0
	v_max_f32_e32 v60, 0, v0
	v_fma_f32 v0, -v25, v60, v3
	v_mul_f32_e32 v1, v33, v4
	v_cmp_lt_f32_e64 s[8:9], v1, v0
                                        ; implicit-def: $vgpr0
.LBB1_314:                              ;   in Loop: Header=BB1_299 Depth=2
	s_andn2_saveexec_b64 s[10:11], s[4:5]
	s_cbranch_execz .LBB1_297
; %bb.315:                              ;   in Loop: Header=BB1_299 Depth=2
	v_lshl_add_u32 v0, v0, 7, v57
	ds_read_b32 v0, v0
	v_mul_f32_e32 v1, v37, v62
	v_cmp_nlt_f32_e32 vcc, v1, v36
                                        ; implicit-def: $vgpr1
	s_and_saveexec_b64 s[4:5], vcc
	s_xor_b64 s[12:13], exec, s[4:5]
	s_cbranch_execz .LBB1_317
; %bb.316:                              ;   in Loop: Header=BB1_299 Depth=2
	v_fma_f32 v1, v38, v61, 1.0
	v_sub_f32_e32 v1, v1, v61
	v_mul_f32_e32 v2, 0x4f800000, v1
	v_cmp_gt_f32_e32 vcc, s80, v1
	v_cndmask_b32_e32 v1, v1, v2, vcc
	v_sqrt_f32_e32 v2, v1
                                        ; implicit-def: $vgpr61
	v_add_u32_e32 v3, -1, v2
	v_fma_f32 v5, -v3, v2, v1
	v_add_u32_e32 v4, 1, v2
	v_cmp_ge_f32_e64 s[4:5], 0, v5
	v_cndmask_b32_e64 v3, v2, v3, s[4:5]
	v_fma_f32 v2, -v4, v2, v1
	v_cmp_lt_f32_e64 s[4:5], 0, v2
	v_cndmask_b32_e64 v2, v3, v4, s[4:5]
	v_mul_f32_e32 v3, 0x37800000, v2
	v_cndmask_b32_e32 v2, v2, v3, vcc
	v_mov_b32_e32 v3, 0x260
	v_cmp_class_f32_e32 vcc, v1, v3
	v_cndmask_b32_e32 v1, v2, v1, vcc
.LBB1_317:                              ;   in Loop: Header=BB1_299 Depth=2
	s_andn2_saveexec_b64 s[4:5], s[12:13]
	s_cbranch_execz .LBB1_296
; %bb.318:                              ;   in Loop: Header=BB1_299 Depth=2
	v_mul_f32_e32 v1, v36, v61
	v_mul_f32_e32 v2, 0x3fb8aa3b, v1
	v_fma_f32 v3, v1, s81, -v2
	v_rndne_f32_e32 v4, v2
	v_fmac_f32_e32 v3, 0x32a5705f, v1
	v_sub_f32_e32 v2, v2, v4
	v_add_f32_e32 v2, v2, v3
	v_cvt_i32_f32_e32 v3, v4
	v_exp_f32_e32 v2, v2
	v_cmp_ngt_f32_e32 vcc, s60, v1
	v_ldexp_f32 v2, v2, v3
	v_cndmask_b32_e32 v2, 0, v2, vcc
	v_cmp_nlt_f32_e32 vcc, s61, v1
	v_cndmask_b32_e32 v1, v59, v2, vcc
	s_branch .LBB1_296
.LBB1_319:                              ;   in Loop: Header=BB1_19 Depth=1
	v_cndmask_b32_e64 v2, 0, 1, s[4:5]
	s_cbranch_execz .LBB1_18
	s_branch .LBB1_394
.LBB1_320:                              ;   in Loop: Header=BB1_19 Depth=1
	flat_load_ubyte v0, v[51:52] glc
	s_waitcnt vmcnt(0) lgkmcnt(0)
	v_cmp_lt_u32_e32 vcc, 1, v0
	v_add_u32_e32 v0, 1, v0
	s_and_saveexec_b64 s[22:23], vcc
	s_cbranch_execnz .LBB1_323
; %bb.321:                              ;   in Loop: Header=BB1_19 Depth=1
	s_or_b64 exec, exec, s[22:23]
	s_and_saveexec_b64 s[4:5], s[18:19]
	s_cbranch_execnz .LBB1_324
.LBB1_322:                              ;   in Loop: Header=BB1_19 Depth=1
	s_or_b64 exec, exec, s[4:5]
	s_and_saveexec_b64 s[6:7], s[20:21]
	s_cbranch_execnz .LBB1_325
	s_branch .LBB1_330
.LBB1_323:                              ;   in Loop: Header=BB1_19 Depth=1
	s_add_u32 s8, s16, 8
	s_addc_u32 s9, s17, 0
	s_getpc_b64 s[4:5]
	s_add_u32 s4, s4, _Z17MT_generate_arrayv@rel32@lo+4
	s_addc_u32 s5, s5, _Z17MT_generate_arrayv@rel32@hi+12
	s_swappc_b64 s[30:31], s[4:5]
	v_mov_b32_e32 v0, 0
	s_or_b64 exec, exec, s[22:23]
	s_and_saveexec_b64 s[4:5], s[18:19]
	s_cbranch_execz .LBB1_322
.LBB1_324:                              ;   in Loop: Header=BB1_19 Depth=1
	flat_store_byte v[51:52], v0
	s_waitcnt vmcnt(0)
	s_or_b64 exec, exec, s[4:5]
	s_and_saveexec_b64 s[6:7], s[20:21]
	s_cbranch_execz .LBB1_330
.LBB1_325:                              ;   in Loop: Header=BB1_19 Depth=1
	v_mul_f32_e32 v1, 0x4f800000, v60
	v_cmp_gt_f32_e32 vcc, s80, v60
	v_cndmask_b32_e32 v1, v60, v1, vcc
	v_sqrt_f32_e32 v2, v1
	v_lshl_add_u32 v0, v0, 7, v57
	v_add_u32_e32 v3, -1, v2
	v_fma_f32 v5, -v3, v2, v1
	v_add_u32_e32 v4, 1, v2
	v_cmp_ge_f32_e64 s[4:5], 0, v5
	v_cndmask_b32_e64 v3, v2, v3, s[4:5]
	v_fma_f32 v2, -v4, v2, v1
	v_cmp_lt_f32_e64 s[4:5], 0, v2
	v_cndmask_b32_e64 v2, v3, v4, s[4:5]
	ds_read_b32 v4, v0
	v_mul_f32_e32 v3, 0x37800000, v2
	v_cndmask_b32_e32 v0, v2, v3, vcc
	v_mov_b32_e32 v2, 0x260
	v_cmp_class_f32_e32 vcc, v1, v2
	v_cndmask_b32_e32 v3, v0, v1, vcc
	s_waitcnt lgkmcnt(0)
	v_mul_f32_e32 v1, 0x40c90fdb, v4
	v_mul_f32_e32 v1, 0.15915494, v1
	v_sin_f32_e32 v2, v1
	v_cos_f32_e32 v4, v1
	v_mul_f32_e32 v5, v26, v26
	v_fmac_f32_e32 v5, v27, v27
	s_mov_b32 s4, 0x1e3ce508
	v_sub_f32_e32 v0, 1.0, v42
	v_cmp_ngt_f32_e32 vcc, s4, v5
	v_mul_f32_e32 v1, v3, v2
	v_mul_f32_e32 v2, v3, v4
	s_and_saveexec_b64 s[4:5], vcc
	s_xor_b64 s[8:9], exec, s[4:5]
	s_cbranch_execz .LBB1_327
; %bb.326:                              ;   in Loop: Header=BB1_19 Depth=1
	v_cmp_gt_f32_e32 vcc, s80, v5
	v_mul_f32_e32 v2, 0x4f800000, v5
	v_cndmask_b32_e32 v2, v5, v2, vcc
	v_sqrt_f32_e32 v5, v2
	v_mul_f32_e32 v3, v3, v4
	v_add_u32_e32 v6, -1, v5
	v_fma_f32 v7, -v6, v5, v2
	v_cmp_ge_f32_e64 s[4:5], 0, v7
	v_add_u32_e32 v7, 1, v5
	v_cndmask_b32_e64 v6, v5, v6, s[4:5]
	v_fma_f32 v5, -v7, v5, v2
	v_cmp_lt_f32_e64 s[4:5], 0, v5
	v_cndmask_b32_e64 v5, v6, v7, s[4:5]
	v_mul_f32_e32 v6, 0x37800000, v5
	v_cndmask_b32_e32 v5, v5, v6, vcc
	v_mov_b32_e32 v6, 0x260
	v_cmp_class_f32_e32 vcc, v2, v6
	v_cndmask_b32_e32 v2, v5, v2, vcc
	v_div_scale_f32 v4, s[4:5], v2, v2, v27
	v_rcp_f32_e32 v5, v4
	v_fma_f32 v6, -v4, v5, 1.0
	v_fmac_f32_e32 v5, v6, v5
	v_div_scale_f32 v6, vcc, v27, v2, v27
	v_mul_f32_e32 v7, v6, v5
	v_fma_f32 v8, -v4, v7, v6
	v_fmac_f32_e32 v7, v8, v5
	v_fma_f32 v4, -v4, v7, v6
	v_div_fmas_f32 v4, v4, v5, v7
	v_div_scale_f32 v5, s[4:5], v2, v2, v26
	v_div_fixup_f32 v4, v4, v2, v27
	v_rcp_f32_e32 v6, v5
	v_fma_f32 v7, -v5, v6, 1.0
	v_fmac_f32_e32 v6, v7, v6
	v_div_scale_f32 v7, vcc, v26, v2, v26
	v_mul_f32_e32 v8, v7, v6
	v_fma_f32 v9, -v5, v8, v7
	v_fmac_f32_e32 v8, v9, v6
	v_fma_f32 v5, -v5, v8, v7
	v_div_fmas_f32 v5, v5, v6, v8
	v_mul_f32_e32 v7, v4, v1
	v_mul_f32_e32 v4, v28, v4
	;; [unrolled: 1-line block ×3, first 2 shown]
	v_div_fixup_f32 v5, v5, v2, v26
	v_mul_f32_e32 v6, v28, v5
	v_fma_f32 v6, v6, v3, -v7
	v_fmac_f32_e32 v4, v5, v1
	v_fmac_f32_e32 v6, v26, v0
	;; [unrolled: 1-line block ×3, first 2 shown]
	v_mul_f32_e32 v1, v2, v3
	v_fma_f32 v28, v28, v0, -v1
	v_mov_b32_e32 v26, v6
	v_mov_b32_e32 v27, v4
                                        ; implicit-def: $vgpr0
                                        ; implicit-def: $vgpr2
                                        ; implicit-def: $vgpr1
.LBB1_327:                              ;   in Loop: Header=BB1_19 Depth=1
	s_andn2_saveexec_b64 s[4:5], s[8:9]
; %bb.328:                              ;   in Loop: Header=BB1_19 Depth=1
	v_mul_f32_e32 v28, v28, v0
	v_mov_b32_e32 v26, v2
	v_mov_b32_e32 v27, v1
; %bb.329:                              ;   in Loop: Header=BB1_19 Depth=1
	s_or_b64 exec, exec, s[4:5]
.LBB1_330:                              ;   in Loop: Header=BB1_19 Depth=1
	s_or_b64 exec, exec, s[6:7]
	v_cndmask_b32_e64 v0, 0, 1, s[20:21]
	v_cmp_ne_u32_e32 vcc, 0, v0
	s_and_saveexec_b64 s[4:5], s[18:19]
	s_cbranch_execz .LBB1_332
; %bb.331:                              ;   in Loop: Header=BB1_19 Depth=1
	buffer_load_dword v2, off, s[0:3], 0 offset:312 ; 4-byte Folded Reload
	buffer_load_dword v3, off, s[0:3], 0 offset:316 ; 4-byte Folded Reload
	s_bcnt1_i32_b32 s6, vcc_lo
	s_waitcnt vmcnt(0)
	flat_load_dword v1, v[2:3] glc
	s_waitcnt vmcnt(0) lgkmcnt(0)
	v_add_u32_e32 v1, s6, v1
	flat_store_dword v[2:3], v1
	s_waitcnt vmcnt(0)
	flat_load_dword v1, v[55:56] glc
	s_waitcnt vmcnt(0) lgkmcnt(0)
	v_add_u32_e32 v1, 1, v1
	flat_store_dword v[55:56], v1
	s_waitcnt vmcnt(0)
.LBB1_332:                              ;   in Loop: Header=BB1_19 Depth=1
	s_or_b64 exec, exec, s[4:5]
	v_mul_f32_e32 v1, v23, v25
	v_cndmask_b32_e64 v45, v45, 2, s[20:21]
	v_cndmask_b32_e64 v23, v23, v1, s[20:21]
	v_add_u32_e32 v32, v32, v0
.LBB1_333:                              ;   in Loop: Header=BB1_19 Depth=1
	s_or_b64 s[6:7], s[84:85], s[20:21]
	v_cndmask_b32_e64 v0, 0, 1, s[6:7]
	v_cmp_ne_u32_e32 vcc, 0, v0
	s_cmp_eq_u64 vcc, exec
	s_cbranch_scc1 .LBB1_392
; %bb.334:                              ;   in Loop: Header=BB1_19 Depth=1
	v_mov_b32_e32 v0, 5
	v_cmp_eq_u16_sdwa vcc, v45, v0 src0_sel:BYTE_0 src1_sel:DWORD
	s_cbranch_vccz .LBB1_338
; %bb.335:                              ;   in Loop: Header=BB1_19 Depth=1
	v_cndmask_b32_e64 v0, 0, 1, vcc
	v_cmp_ne_u32_e64 s[4:5], 0, v0
	s_and_saveexec_b64 s[8:9], s[18:19]
	s_cbranch_execz .LBB1_337
; %bb.336:                              ;   in Loop: Header=BB1_19 Depth=1
	buffer_load_dword v1, off, s[0:3], 0 offset:352 ; 4-byte Folded Reload
	buffer_load_dword v2, off, s[0:3], 0 offset:356 ; 4-byte Folded Reload
	s_bcnt1_i32_b32 s4, s4
	s_waitcnt vmcnt(0)
	flat_load_dword v0, v[1:2] glc
	s_waitcnt vmcnt(0) lgkmcnt(0)
	v_add_u32_e32 v0, s4, v0
	flat_store_dword v[1:2], v0
	s_waitcnt vmcnt(0)
	flat_load_dword v0, v[55:56] glc
	s_waitcnt vmcnt(0) lgkmcnt(0)
	v_add_u32_e32 v0, 1, v0
	flat_store_dword v[55:56], v0
	s_waitcnt vmcnt(0)
.LBB1_337:                              ;   in Loop: Header=BB1_19 Depth=1
	s_or_b64 exec, exec, s[8:9]
	v_cndmask_b32_e64 v45, v45, 8, vcc
.LBB1_338:                              ;   in Loop: Header=BB1_19 Depth=1
	s_or_b64 s[22:23], s[6:7], vcc
	v_cndmask_b32_e64 v0, 0, 1, s[22:23]
	v_cmp_ne_u32_e64 s[4:5], 0, v0
	s_cmp_eq_u64 s[4:5], exec
	s_cbranch_scc1 .LBB1_395
; %bb.339:                              ;   in Loop: Header=BB1_19 Depth=1
	v_mov_b32_e32 v0, 3
	v_cmp_eq_u16_sdwa s[20:21], v45, v0 src0_sel:BYTE_0 src1_sel:DWORD
	v_cmp_ne_u16_sdwa s[4:5], v45, v0 src0_sel:BYTE_0 src1_sel:DWORD
	s_mov_b64 vcc, s[20:21]
	s_cbranch_vccz .LBB1_381
; %bb.340:                              ;   in Loop: Header=BB1_19 Depth=1
                                        ; implicit-def: $vgpr0
	s_and_saveexec_b64 s[6:7], s[20:21]
	s_cbranch_execz .LBB1_342
; %bb.341:                              ;   in Loop: Header=BB1_19 Depth=1
	v_mov_b32_e32 v42, v46
	v_lshlrev_b64 v[0:1], 4, v[41:42]
	v_mov_b32_e32 v2, s69
	v_add_co_u32_e32 v0, vcc, s68, v0
	v_addc_co_u32_e32 v1, vcc, v2, v1, vcc
	global_load_ushort v0, v[0:1], off
	v_add_u32_e32 v32, 0x10000, v32
	v_mov_b32_e32 v45, 2
.LBB1_342:                              ;   in Loop: Header=BB1_19 Depth=1
	s_or_b64 exec, exec, s[6:7]
	s_waitcnt vmcnt(0)
	v_and_b32_e32 v0, 0xffff, v0
	s_and_saveexec_b64 s[6:7], s[4:5]
	s_xor_b64 s[4:5], exec, s[6:7]
	s_or_saveexec_b64 s[6:7], s[4:5]
	v_mov_b32_e32 v33, 0
	v_mov_b32_e32 v29, 0
	;; [unrolled: 1-line block ×3, first 2 shown]
	s_xor_b64 exec, exec, s[6:7]
	s_cbranch_execz .LBB1_344
; %bb.343:                              ;   in Loop: Header=BB1_19 Depth=1
	v_cmp_gt_f32_e32 vcc, s66, v23
	v_cndmask_b32_e64 v1, 0, 32, vcc
	v_ldexp_f32 v1, v23, v1
	v_log_f32_e32 v1, v1
	v_mul_f32_e32 v2, 0x3f317217, v1
	v_fma_f32 v2, v1, s27, -v2
	v_fmac_f32_e32 v2, 0x3377d1cf, v1
	v_fmac_f32_e32 v2, 0x3f317217, v1
	v_cmp_lt_f32_e64 s[4:5], |v1|, s86
	v_cndmask_b32_e64 v1, v1, v2, s[4:5]
	v_cndmask_b32_e32 v2, 0, v22, vcc
	v_sub_f32_e32 v1, v1, v2
	v_lshlrev_b32_e32 v2, 3, v0
	global_load_dwordx2 v[2:3], v2, s[70:71]
	v_readlane_b32 s4, v63, 25
	v_readlane_b32 s5, v63, 26
	v_mov_b32_e32 v4, s5
	s_waitcnt vmcnt(0)
	v_fmac_f32_e32 v2, v1, v3
	v_cvt_i32_f32_e32 v2, v2
	v_mad_u32_u24 v2, v0, s87, v2
	v_ashrrev_i32_e32 v3, 31, v2
	v_lshlrev_b64 v[2:3], 3, v[2:3]
	v_add_co_u32_e32 v2, vcc, s4, v2
	v_addc_co_u32_e32 v3, vcc, v4, v3, vcc
	global_load_dwordx2 v[29:30], v[2:3], off
	s_waitcnt vmcnt(0)
	v_fmac_f32_e32 v29, v1, v30
	v_mul_f32_e32 v30, 0x42a14f65, v23
.LBB1_344:                              ;   in Loop: Header=BB1_19 Depth=1
	s_or_b64 exec, exec, s[6:7]
	s_movk_i32 s4, 0x64
	s_xor_b64 s[54:55], s[20:21], -1
	v_mul_u32_u24_e32 v36, 0x64, v0
	v_mad_u32_u24 v37, v0, s4, -1
	v_mov_b32_e32 v25, 0
	v_mov_b32_e32 v38, 0
	s_branch .LBB1_347
.LBB1_345:                              ;   in Loop: Header=BB1_347 Depth=2
	s_or_b64 exec, exec, s[8:9]
	v_mul_f32_e32 v33, v25, v25
	s_orn2_b64 s[54:55], s[6:7], exec
.LBB1_346:                              ;   in Loop: Header=BB1_347 Depth=2
	s_or_b64 exec, exec, s[4:5]
	v_cndmask_b32_e64 v0, 0, 1, s[54:55]
	v_cmp_ne_u32_e32 vcc, 0, v0
	s_cmp_lg_u64 vcc, exec
	s_cbranch_scc0 .LBB1_368
.LBB1_347:                              ;   Parent Loop BB1_19 Depth=1
                                        ; =>  This Loop Header: Depth=2
                                        ;       Child Loop BB1_350 Depth 3
                                        ;         Child Loop BB1_359 Depth 4
	s_xor_b64 s[52:53], s[54:55], -1
	s_branch .LBB1_350
.LBB1_348:                              ;   in Loop: Header=BB1_350 Depth=3
	s_or_b64 exec, exec, s[8:9]
	v_lshlrev_b64 v[0:1], 4, v[0:1]
	v_mov_b32_e32 v2, s95
	v_add_co_u32_e32 v0, vcc, s94, v0
	v_addc_co_u32_e32 v1, vcc, v2, v1, vcc
	global_load_dwordx4 v[0:3], v[0:1], off
	s_waitcnt vmcnt(0)
	v_sub_f32_e32 v1, v4, v1
	v_fma_f32 v1, v1, v3, 1.0
	v_cmp_gt_f32_e32 vcc, s66, v1
	v_cndmask_b32_e64 v3, 0, 32, vcc
	v_ldexp_f32 v1, v1, v3
	v_log_f32_e32 v1, v1
	v_cndmask_b32_e32 v3, 0, v22, vcc
	v_mul_f32_e32 v4, 0x3f317217, v1
	v_fma_f32 v4, v1, s27, -v4
	v_fmac_f32_e32 v4, 0x3377d1cf, v1
	v_fmac_f32_e32 v4, 0x3f317217, v1
	v_cmp_lt_f32_e64 vcc, |v1|, s86
	v_cndmask_b32_e32 v1, v1, v4, vcc
	v_sub_f32_e32 v1, v1, v3
	v_mul_f32_e32 v1, v2, v1
	v_mul_f32_e32 v2, 0x3fb8aa3b, v1
	v_fma_f32 v3, v1, s81, -v2
	v_rndne_f32_e32 v4, v2
	v_fmac_f32_e32 v3, 0x32a5705f, v1
	v_sub_f32_e32 v2, v2, v4
	v_add_f32_e32 v2, v2, v3
	v_cvt_i32_f32_e32 v4, v4
	v_exp_f32_e32 v2, v2
	v_cmp_ngt_f32_e32 vcc, s60, v1
	v_ldexp_f32 v2, v2, v4
	v_cndmask_b32_e32 v2, 0, v2, vcc
	v_cmp_nlt_f32_e32 vcc, s61, v1
	v_cndmask_b32_e32 v1, v59, v2, vcc
	v_mul_f32_e32 v38, v0, v1
	v_cmp_lt_f32_e32 vcc, v38, v30
	s_orn2_b64 s[54:55], vcc, exec
.LBB1_349:                              ;   in Loop: Header=BB1_350 Depth=3
	s_or_b64 exec, exec, s[6:7]
	v_cndmask_b32_e64 v0, 0, 1, s[54:55]
	v_cmp_ne_u32_e32 vcc, 0, v0
	s_cmp_lg_u64 vcc, exec
	s_cbranch_scc0 .LBB1_361
.LBB1_350:                              ;   Parent Loop BB1_19 Depth=1
                                        ;     Parent Loop BB1_347 Depth=2
                                        ; =>    This Loop Header: Depth=3
                                        ;         Child Loop BB1_359 Depth 4
	flat_load_ubyte v0, v[51:52] glc
	s_waitcnt vmcnt(0) lgkmcnt(0)
	v_cmp_lt_u32_e32 vcc, 1, v0
	v_add_u32_e32 v0, 1, v0
	s_and_saveexec_b64 s[84:85], vcc
	s_cbranch_execz .LBB1_352
; %bb.351:                              ;   in Loop: Header=BB1_350 Depth=3
	s_add_u32 s8, s16, 8
	s_addc_u32 s9, s17, 0
	s_getpc_b64 s[4:5]
	s_add_u32 s4, s4, _Z17MT_generate_arrayv@rel32@lo+4
	s_addc_u32 s5, s5, _Z17MT_generate_arrayv@rel32@hi+12
	s_swappc_b64 s[30:31], s[4:5]
	v_mov_b32_e32 v0, 0
.LBB1_352:                              ;   in Loop: Header=BB1_350 Depth=3
	s_or_b64 exec, exec, s[84:85]
	s_and_saveexec_b64 s[4:5], s[18:19]
	s_cbranch_execz .LBB1_354
; %bb.353:                              ;   in Loop: Header=BB1_350 Depth=3
	flat_store_byte v[51:52], v0
	s_waitcnt vmcnt(0)
.LBB1_354:                              ;   in Loop: Header=BB1_350 Depth=3
	s_or_b64 exec, exec, s[4:5]
	s_xor_b64 s[4:5], s[54:55], -1
	s_mov_b64 s[54:55], -1
	s_and_saveexec_b64 s[6:7], s[4:5]
	s_cbranch_execz .LBB1_349
; %bb.355:                              ;   in Loop: Header=BB1_350 Depth=3
	v_lshl_add_u32 v0, v0, 7, v57
	ds_read_b32 v0, v0
	v_mov_b32_e32 v2, s93
	s_waitcnt lgkmcnt(0)
	v_mul_f32_e32 v4, v29, v0
	v_mul_f32_e32 v0, 0x42c60000, v4
	v_cvt_i32_f32_e32 v0, v0
	v_add_u32_e32 v0, v36, v0
	v_ashrrev_i32_e32 v1, 31, v0
	v_lshlrev_b64 v[0:1], 2, v[0:1]
	v_add_co_u32_e32 v0, vcc, s92, v0
	v_addc_co_u32_e32 v1, vcc, v2, v1, vcc
	global_load_dwordx2 v[2:3], v[0:1], off
	s_waitcnt vmcnt(0)
	v_add_u32_e32 v5, -1, v2
	v_add_u32_e32 v0, -1, v3
	v_cmp_le_i32_e32 vcc, v0, v5
                                        ; implicit-def: $vgpr0_vgpr1
	s_and_saveexec_b64 s[4:5], vcc
	s_xor_b64 s[4:5], exec, s[4:5]
; %bb.356:                              ;   in Loop: Header=BB1_350 Depth=3
	v_add_u32_e32 v0, v5, v36
	v_ashrrev_i32_e32 v1, 31, v0
                                        ; implicit-def: $vgpr5
                                        ; implicit-def: $vgpr2_vgpr3
; %bb.357:                              ;   in Loop: Header=BB1_350 Depth=3
	s_andn2_saveexec_b64 s[8:9], s[4:5]
	s_cbranch_execz .LBB1_348
; %bb.358:                              ;   in Loop: Header=BB1_350 Depth=3
	v_add_u32_e32 v2, v37, v2
	v_ashrrev_i32_e32 v3, 31, v2
	v_add_co_u32_e32 v0, vcc, -1, v2
	v_addc_co_u32_e32 v1, vcc, -1, v3, vcc
	v_lshlrev_b64 v[2:3], 4, v[2:3]
	v_mov_b32_e32 v6, s51
	v_add_co_u32_e32 v2, vcc, s47, v2
	v_addc_co_u32_e32 v3, vcc, v6, v3, vcc
	s_mov_b64 s[10:11], 0
.LBB1_359:                              ;   Parent Loop BB1_19 Depth=1
                                        ;     Parent Loop BB1_347 Depth=2
                                        ;       Parent Loop BB1_350 Depth=3
                                        ; =>      This Inner Loop Header: Depth=4
	global_load_dword v6, v[2:3], off
	s_movk_i32 s4, 0x61
	v_cmp_lt_i32_e64 s[4:5], s4, v5
	v_add_u32_e32 v5, 1, v5
	s_waitcnt vmcnt(0)
	v_cmp_lt_f32_e32 vcc, v4, v6
	s_or_b64 s[4:5], s[4:5], vcc
	v_add_co_u32_e32 v0, vcc, 1, v0
	v_addc_co_u32_e32 v1, vcc, 0, v1, vcc
	v_add_co_u32_e32 v2, vcc, 16, v2
	s_and_b64 s[4:5], exec, s[4:5]
	v_addc_co_u32_e32 v3, vcc, 0, v3, vcc
	s_or_b64 s[10:11], s[4:5], s[10:11]
	s_andn2_b64 exec, exec, s[10:11]
	s_cbranch_execnz .LBB1_359
; %bb.360:                              ;   in Loop: Header=BB1_350 Depth=3
	s_or_b64 exec, exec, s[10:11]
	s_branch .LBB1_348
.LBB1_361:                              ;   in Loop: Header=BB1_347 Depth=2
	flat_load_ubyte v0, v[51:52] glc
	s_waitcnt vmcnt(0) lgkmcnt(0)
	v_cmp_lt_u32_e32 vcc, 1, v0
	v_add_u32_e32 v0, 1, v0
	s_and_saveexec_b64 s[54:55], vcc
	s_cbranch_execnz .LBB1_364
; %bb.362:                              ;   in Loop: Header=BB1_347 Depth=2
	s_or_b64 exec, exec, s[54:55]
	s_and_saveexec_b64 s[4:5], s[18:19]
	s_cbranch_execnz .LBB1_365
.LBB1_363:                              ;   in Loop: Header=BB1_347 Depth=2
	s_or_b64 exec, exec, s[4:5]
	s_mov_b64 s[54:55], -1
	s_and_saveexec_b64 s[4:5], s[52:53]
	s_cbranch_execz .LBB1_346
	s_branch .LBB1_366
.LBB1_364:                              ;   in Loop: Header=BB1_347 Depth=2
	s_add_u32 s8, s16, 8
	s_addc_u32 s9, s17, 0
	s_getpc_b64 s[4:5]
	s_add_u32 s4, s4, _Z17MT_generate_arrayv@rel32@lo+4
	s_addc_u32 s5, s5, _Z17MT_generate_arrayv@rel32@hi+12
	s_swappc_b64 s[30:31], s[4:5]
	v_mov_b32_e32 v0, 0
	s_or_b64 exec, exec, s[54:55]
	s_and_saveexec_b64 s[4:5], s[18:19]
	s_cbranch_execz .LBB1_363
.LBB1_365:                              ;   in Loop: Header=BB1_347 Depth=2
	flat_store_byte v[51:52], v0
	s_waitcnt vmcnt(0)
	s_or_b64 exec, exec, s[4:5]
	s_mov_b64 s[54:55], -1
	s_and_saveexec_b64 s[4:5], s[52:53]
	s_cbranch_execz .LBB1_346
.LBB1_366:                              ;   in Loop: Header=BB1_347 Depth=2
	v_div_scale_f32 v1, s[6:7], v23, v23, v38
	v_div_scale_f32 v2, vcc, v38, v23, v38
	v_lshl_add_u32 v0, v0, 7, v57
	ds_read_b32 v0, v0
	s_mov_b64 s[6:7], 0
	s_waitcnt lgkmcnt(0)
	v_add_f32_e32 v0, v0, v0
	v_rcp_f32_e32 v3, v1
	v_fma_f32 v4, -v1, v3, 1.0
	v_fmac_f32_e32 v3, v4, v3
	v_mul_f32_e32 v4, v2, v3
	v_fma_f32 v5, -v1, v4, v2
	v_fmac_f32_e32 v4, v5, v3
	v_fma_f32 v1, -v1, v4, v2
	v_div_fmas_f32 v1, v1, v3, v4
	v_div_fixup_f32 v38, v1, v23, v38
	v_mul_f32_e32 v1, 0xb9a1307f, v38
	v_fma_f32 v25, v38, v1, 1.0
	v_fma_f32 v1, v25, v25, 1.0
	v_cmp_lt_f32_e32 vcc, v0, v1
	s_and_saveexec_b64 s[8:9], vcc
	s_cbranch_execz .LBB1_345
; %bb.367:                              ;   in Loop: Header=BB1_347 Depth=2
	s_mov_b64 s[6:7], exec
	s_branch .LBB1_345
.LBB1_368:                              ;   in Loop: Header=BB1_19 Depth=1
	flat_load_ubyte v0, v[51:52] glc
	s_waitcnt vmcnt(0) lgkmcnt(0)
	v_cmp_lt_u32_e32 vcc, 1, v0
	v_add_u32_e32 v0, 1, v0
	s_and_saveexec_b64 s[52:53], vcc
	s_cbranch_execnz .LBB1_371
; %bb.369:                              ;   in Loop: Header=BB1_19 Depth=1
	s_or_b64 exec, exec, s[52:53]
	s_and_saveexec_b64 s[4:5], s[18:19]
	s_cbranch_execnz .LBB1_372
.LBB1_370:                              ;   in Loop: Header=BB1_19 Depth=1
	s_or_b64 exec, exec, s[4:5]
	s_and_saveexec_b64 s[6:7], s[20:21]
	s_cbranch_execnz .LBB1_373
	s_branch .LBB1_378
.LBB1_371:                              ;   in Loop: Header=BB1_19 Depth=1
	s_add_u32 s8, s16, 8
	s_addc_u32 s9, s17, 0
	s_getpc_b64 s[4:5]
	s_add_u32 s4, s4, _Z17MT_generate_arrayv@rel32@lo+4
	s_addc_u32 s5, s5, _Z17MT_generate_arrayv@rel32@hi+12
	s_swappc_b64 s[30:31], s[4:5]
	v_mov_b32_e32 v0, 0
	s_or_b64 exec, exec, s[52:53]
	s_and_saveexec_b64 s[4:5], s[18:19]
	s_cbranch_execz .LBB1_370
.LBB1_372:                              ;   in Loop: Header=BB1_19 Depth=1
	flat_store_byte v[51:52], v0
	s_waitcnt vmcnt(0)
	s_or_b64 exec, exec, s[4:5]
	s_and_saveexec_b64 s[6:7], s[20:21]
	s_cbranch_execz .LBB1_378
.LBB1_373:                              ;   in Loop: Header=BB1_19 Depth=1
	v_sub_f32_e32 v1, 1.0, v33
	v_mul_f32_e32 v2, 0x4f800000, v1
	v_cmp_gt_f32_e32 vcc, s80, v1
	v_cndmask_b32_e32 v1, v1, v2, vcc
	v_sqrt_f32_e32 v2, v1
	v_lshl_add_u32 v0, v0, 7, v57
	ds_read_b32 v0, v0
	v_add_u32_e32 v3, -1, v2
	v_fma_f32 v5, -v3, v2, v1
	v_add_u32_e32 v4, 1, v2
	v_cmp_ge_f32_e64 s[4:5], 0, v5
	v_cndmask_b32_e64 v3, v2, v3, s[4:5]
	v_fma_f32 v2, -v4, v2, v1
	v_cmp_lt_f32_e64 s[4:5], 0, v2
	v_cndmask_b32_e64 v2, v3, v4, s[4:5]
	v_mul_f32_e32 v3, 0x37800000, v2
	v_cndmask_b32_e32 v2, v2, v3, vcc
	v_mov_b32_e32 v3, 0x260
	s_waitcnt lgkmcnt(0)
	v_mul_f32_e32 v0, 0x40c90fdb, v0
	v_cmp_class_f32_e32 vcc, v1, v3
	v_mul_f32_e32 v0, 0.15915494, v0
	v_cndmask_b32_e32 v2, v2, v1, vcc
	v_sin_f32_e32 v1, v0
	v_cos_f32_e32 v3, v0
	v_mul_f32_e32 v4, v26, v26
	v_fmac_f32_e32 v4, v27, v27
	s_mov_b32 s4, 0x1e3ce508
	v_cmp_ngt_f32_e32 vcc, s4, v4
	v_mul_f32_e32 v0, v2, v1
	v_mul_f32_e32 v1, v2, v3
	s_and_saveexec_b64 s[4:5], vcc
	s_xor_b64 s[8:9], exec, s[4:5]
	s_cbranch_execz .LBB1_375
; %bb.374:                              ;   in Loop: Header=BB1_19 Depth=1
	v_cmp_gt_f32_e32 vcc, s80, v4
	v_mul_f32_e32 v1, 0x4f800000, v4
	v_cndmask_b32_e32 v1, v4, v1, vcc
	v_sqrt_f32_e32 v4, v1
	v_mul_f32_e32 v2, v2, v3
	v_add_u32_e32 v5, -1, v4
	v_fma_f32 v6, -v5, v4, v1
	v_cmp_ge_f32_e64 s[4:5], 0, v6
	v_add_u32_e32 v6, 1, v4
	v_cndmask_b32_e64 v5, v4, v5, s[4:5]
	v_fma_f32 v4, -v6, v4, v1
	v_cmp_lt_f32_e64 s[4:5], 0, v4
	v_cndmask_b32_e64 v4, v5, v6, s[4:5]
	v_mul_f32_e32 v5, 0x37800000, v4
	v_cndmask_b32_e32 v4, v4, v5, vcc
	v_mov_b32_e32 v5, 0x260
	v_cmp_class_f32_e32 vcc, v1, v5
	v_cndmask_b32_e32 v1, v4, v1, vcc
	v_div_scale_f32 v3, s[4:5], v1, v1, v27
	v_rcp_f32_e32 v4, v3
	v_fma_f32 v5, -v3, v4, 1.0
	v_fmac_f32_e32 v4, v5, v4
	v_div_scale_f32 v5, vcc, v27, v1, v27
	v_mul_f32_e32 v6, v5, v4
	v_fma_f32 v7, -v3, v6, v5
	v_fmac_f32_e32 v6, v7, v4
	v_fma_f32 v3, -v3, v6, v5
	v_div_fmas_f32 v3, v3, v4, v6
	v_div_scale_f32 v4, s[4:5], v1, v1, v26
	v_div_fixup_f32 v3, v3, v1, v27
	v_rcp_f32_e32 v5, v4
	v_fma_f32 v6, -v4, v5, 1.0
	v_fmac_f32_e32 v5, v6, v5
	v_div_scale_f32 v6, vcc, v26, v1, v26
	v_mul_f32_e32 v7, v6, v5
	v_fma_f32 v8, -v4, v7, v6
	v_fmac_f32_e32 v7, v8, v5
	v_fma_f32 v4, -v4, v7, v6
	v_div_fmas_f32 v4, v4, v5, v7
	v_mul_f32_e32 v6, v3, v0
	v_mul_f32_e32 v3, v28, v3
	;; [unrolled: 1-line block ×3, first 2 shown]
	v_div_fixup_f32 v4, v4, v1, v26
	v_mul_f32_e32 v5, v28, v4
	v_fma_f32 v5, v5, v2, -v6
	v_fmac_f32_e32 v3, v4, v0
	v_fmac_f32_e32 v5, v26, v25
	;; [unrolled: 1-line block ×3, first 2 shown]
	v_mul_f32_e32 v0, v1, v2
	v_fma_f32 v28, v28, v25, -v0
	v_mov_b32_e32 v26, v5
	v_mov_b32_e32 v27, v3
                                        ; implicit-def: $vgpr1
                                        ; implicit-def: $vgpr0
.LBB1_375:                              ;   in Loop: Header=BB1_19 Depth=1
	s_andn2_saveexec_b64 s[4:5], s[8:9]
; %bb.376:                              ;   in Loop: Header=BB1_19 Depth=1
	v_mul_f32_e32 v28, v28, v25
	v_mov_b32_e32 v26, v1
	v_mov_b32_e32 v27, v0
; %bb.377:                              ;   in Loop: Header=BB1_19 Depth=1
	s_or_b64 exec, exec, s[4:5]
.LBB1_378:                              ;   in Loop: Header=BB1_19 Depth=1
	s_or_b64 exec, exec, s[6:7]
	v_cndmask_b32_e64 v0, 0, 1, s[20:21]
	v_cmp_ne_u32_e32 vcc, 0, v0
	s_and_saveexec_b64 s[4:5], s[18:19]
	s_cbranch_execz .LBB1_380
; %bb.379:                              ;   in Loop: Header=BB1_19 Depth=1
	buffer_load_dword v1, off, s[0:3], 0 offset:360 ; 4-byte Folded Reload
	buffer_load_dword v2, off, s[0:3], 0 offset:364 ; 4-byte Folded Reload
	s_bcnt1_i32_b32 s6, vcc_lo
	s_waitcnt vmcnt(0)
	flat_load_dword v0, v[1:2] glc
	s_waitcnt vmcnt(0) lgkmcnt(0)
	v_add_u32_e32 v0, s6, v0
	flat_store_dword v[1:2], v0
	s_waitcnt vmcnt(0)
	flat_load_dword v0, v[55:56] glc
	s_waitcnt vmcnt(0) lgkmcnt(0)
	v_add_u32_e32 v0, 1, v0
	flat_store_dword v[55:56], v0
	s_waitcnt vmcnt(0)
.LBB1_380:                              ;   in Loop: Header=BB1_19 Depth=1
	s_or_b64 exec, exec, s[4:5]
.LBB1_381:                              ;   in Loop: Header=BB1_19 Depth=1
	s_or_b64 s[6:7], s[22:23], s[20:21]
	v_cndmask_b32_e64 v0, 0, 1, s[6:7]
	v_cmp_ne_u32_e32 vcc, 0, v0
	s_cmp_eq_u64 vcc, exec
	s_cbranch_scc1 .LBB1_392
; %bb.382:                              ;   in Loop: Header=BB1_19 Depth=1
	v_mov_b32_e32 v0, 6
	v_cmp_eq_u16_sdwa vcc, v45, v0 src0_sel:BYTE_0 src1_sel:DWORD
	s_cbranch_vccz .LBB1_386
; %bb.383:                              ;   in Loop: Header=BB1_19 Depth=1
	v_cndmask_b32_e64 v0, 0, 1, vcc
	v_cmp_ne_u32_e64 s[4:5], 0, v0
	s_and_saveexec_b64 s[8:9], s[18:19]
	s_cbranch_execz .LBB1_385
; %bb.384:                              ;   in Loop: Header=BB1_19 Depth=1
	buffer_load_dword v1, off, s[0:3], 0 offset:368 ; 4-byte Folded Reload
	buffer_load_dword v2, off, s[0:3], 0 offset:372 ; 4-byte Folded Reload
	s_bcnt1_i32_b32 s4, s4
	s_waitcnt vmcnt(0)
	flat_load_dword v0, v[1:2] glc
	s_waitcnt vmcnt(0) lgkmcnt(0)
	v_add_u32_e32 v0, s4, v0
	flat_store_dword v[1:2], v0
	s_waitcnt vmcnt(0)
	flat_load_dword v0, v[55:56] glc
	s_waitcnt vmcnt(0) lgkmcnt(0)
	v_add_u32_e32 v0, 1, v0
	flat_store_dword v[55:56], v0
	s_waitcnt vmcnt(0)
.LBB1_385:                              ;   in Loop: Header=BB1_19 Depth=1
	s_or_b64 exec, exec, s[8:9]
	v_cndmask_b32_e64 v45, v45, 8, vcc
.LBB1_386:                              ;   in Loop: Header=BB1_19 Depth=1
	s_or_b64 s[6:7], s[6:7], vcc
	v_cndmask_b32_e64 v0, 0, 1, s[6:7]
	v_cmp_ne_u32_e64 s[4:5], 0, v0
	s_cmp_eq_u64 s[4:5], exec
	s_cbranch_scc1 .LBB1_395
; %bb.387:                              ;   in Loop: Header=BB1_19 Depth=1
	v_cmp_eq_u16_sdwa vcc, v45, v46 src0_sel:BYTE_0 src1_sel:DWORD
	v_cndmask_b32_e64 v2, 0, 1, vcc
	s_cbranch_vccz .LBB1_391
; %bb.388:                              ;   in Loop: Header=BB1_19 Depth=1
	v_cndmask_b32_e64 v0, 0, 1, vcc
	v_cmp_ne_u32_e64 s[4:5], 0, v0
	s_and_saveexec_b64 s[8:9], s[18:19]
	s_cbranch_execz .LBB1_390
; %bb.389:                              ;   in Loop: Header=BB1_19 Depth=1
	flat_load_dword v0, v[43:44] glc
	s_waitcnt vmcnt(0)
	s_bcnt1_i32_b32 s4, s4
	s_waitcnt lgkmcnt(0)
	v_add_u32_e32 v0, s4, v0
	flat_store_dword v[43:44], v0
	s_waitcnt vmcnt(0)
	flat_load_dword v0, v[55:56] glc
	s_waitcnt vmcnt(0) lgkmcnt(0)
	v_add_u32_e32 v0, 1, v0
	flat_store_dword v[55:56], v0
	s_waitcnt vmcnt(0)
.LBB1_390:                              ;   in Loop: Header=BB1_19 Depth=1
	s_or_b64 exec, exec, s[8:9]
	v_cndmask_b32_e64 v45, v45, 8, vcc
.LBB1_391:                              ;   in Loop: Header=BB1_19 Depth=1
	s_nor_b64 s[4:5], s[6:7], vcc
	v_cndmask_b32_e64 v0, 0, 1, s[4:5]
	v_cmp_ne_u32_e32 vcc, 0, v0
	s_cmp_lg_u64 vcc, exec
	s_cselect_b64 s[4:5], -1, 0
	s_xor_b64 s[6:7], s[64:65], -1
	s_or_b64 s[4:5], s[6:7], s[4:5]
	s_and_b64 vcc, exec, s[4:5]
	s_cbranch_vccz .LBB1_18
	s_branch .LBB1_394
.LBB1_392:                              ;   in Loop: Header=BB1_19 Depth=1
	v_cndmask_b32_e64 v2, 0, 1, s[20:21]
.LBB1_393:                              ;   in Loop: Header=BB1_19 Depth=1
	s_cbranch_execz .LBB1_18
.LBB1_394:                              ;   in Loop: Header=BB1_19 Depth=1
	s_add_i32 s67, s67, 1
	s_cmpk_eq_u32 s67, 0x8000
	s_cselect_b64 s[82:83], -1, 0
	s_branch .LBB1_18
.LBB1_395:                              ;   in Loop: Header=BB1_19 Depth=1
	v_cndmask_b32_e64 v2, 0, 1, vcc
	s_cbranch_execz .LBB1_18
	s_branch .LBB1_394
.LBB1_396:
	v_cmp_gt_u32_e32 vcc, 9, v31
	s_waitcnt vmcnt(0) lgkmcnt(0)
	s_barrier
	s_and_saveexec_b64 s[4:5], vcc
	s_cbranch_execz .LBB1_398
; %bb.397:
	v_lshlrev_b32_e32 v0, 2, v31
	v_add_u32_e32 v11, 0x4000, v0
	ds_read2_b32 v[0:1], v11 offset0:80 offset1:89
	ds_read2_b32 v[3:4], v11 offset0:98 offset1:107
	;; [unrolled: 1-line block ×5, first 2 shown]
	s_waitcnt lgkmcnt(4)
	v_add_u32_e32 v0, v1, v0
	s_waitcnt lgkmcnt(3)
	v_add3_u32 v0, v3, v0, v4
	s_waitcnt lgkmcnt(2)
	v_add3_u32 v5, v5, v0, v6
	s_getpc_b64 s[6:7]
	s_add_u32 s6, s6, total_step_counts@rel32@lo+4
	s_addc_u32 s7, s7, total_step_counts@rel32@hi+12
	ds_read2_b32 v[0:1], v11 offset0:170 offset1:179
	ds_read2_b32 v[3:4], v11 offset0:188 offset1:197
	s_waitcnt lgkmcnt(3)
	v_add3_u32 v5, v7, v5, v8
	s_load_dwordx2 s[6:7], s[6:7], 0x0
	s_waitcnt lgkmcnt(0)
	v_add3_u32 v7, v9, v5, v10
	ds_read2_b32 v[5:6], v11 offset0:206 offset1:215
	v_add3_u32 v0, v0, v7, v1
	s_mul_i32 s9, s28, 0x48
	v_add3_u32 v0, v3, v0, v4
	s_mul_hi_u32 s8, s28, 0x48
	s_add_u32 s6, s6, s9
	s_waitcnt lgkmcnt(0)
	v_add3_u32 v0, v5, v0, v6
	v_mov_b32_e32 v1, 0
	s_addc_u32 s7, s7, s8
	v_lshlrev_b32_e32 v3, 3, v31
	global_store_dwordx2 v3, v[0:1], s[6:7]
.LBB1_398:
	s_or_b64 exec, exec, s[4:5]
	v_cmp_eq_u32_e32 vcc, 0, v31
	s_and_saveexec_b64 s[4:5], vcc
	s_cbranch_execz .LBB1_402
; %bb.399:
	s_mov_b64 s[6:7], src_shared_base
	v_mov_b32_e32 v0, 0x4480
	v_mov_b32_e32 v1, s7
	flat_load_dwordx2 v[3:4], v[0:1] glc
	s_waitcnt vmcnt(0)
	v_mov_b32_e32 v0, 0x4488
	flat_load_dwordx2 v[5:6], v[0:1] glc
	s_waitcnt vmcnt(0)
	;; [unrolled: 3-line block ×11, first 2 shown]
	v_mov_b32_e32 v0, 0x44d8
	s_waitcnt lgkmcnt(0)
	v_add_f64 v[3:4], v[3:4], 0
	v_add_f64 v[3:4], v[3:4], v[5:6]
	flat_load_dwordx2 v[5:6], v[0:1] glc
	s_waitcnt vmcnt(0)
	v_mov_b32_e32 v0, 0x44e0
	v_add_f64 v[3:4], v[3:4], v[7:8]
	flat_load_dwordx2 v[7:8], v[0:1] glc
	s_waitcnt vmcnt(0)
	v_mov_b32_e32 v0, 0x44e8
	;; [unrolled: 4-line block ×4, first 2 shown]
	flat_load_dwordx2 v[0:1], v[0:1] glc
	s_waitcnt vmcnt(0)
	v_add_f64 v[3:4], v[3:4], v[13:14]
	v_add_f64 v[3:4], v[3:4], v[15:16]
	;; [unrolled: 1-line block ×6, first 2 shown]
	s_waitcnt lgkmcnt(0)
	v_add_f64 v[3:4], v[3:4], v[5:6]
	v_add_f64 v[3:4], v[3:4], v[7:8]
	;; [unrolled: 1-line block ×5, first 2 shown]
	v_cmp_lt_f64_e32 vcc, 0, v[0:1]
	s_and_saveexec_b64 s[6:7], vcc
	s_cbranch_execz .LBB1_401
; %bb.400:
	s_getpc_b64 s[8:9]
	s_add_u32 s8, s8, total_weights@rel32@lo+4
	s_addc_u32 s9, s9, total_weights@rel32@hi+12
	s_load_dwordx2 s[8:9], s[8:9], 0x0
	s_lshl_b64 s[10:11], s[28:29], 3
	v_mov_b32_e32 v5, 0
	s_waitcnt lgkmcnt(0)
	s_add_u32 s8, s8, s10
	s_addc_u32 s9, s9, s11
	global_load_dwordx2 v[3:4], v5, s[8:9]
	s_waitcnt vmcnt(0)
	v_add_f64 v[0:1], v[0:1], v[3:4]
	global_store_dwordx2 v5, v[0:1], s[8:9]
.LBB1_401:
	s_or_b64 exec, exec, s[6:7]
	s_mov_b64 s[6:7], src_shared_base
	v_mov_b32_e32 v0, 0x4500
	v_mov_b32_e32 v1, s7
	flat_load_dword v3, v[0:1] glc
	s_waitcnt vmcnt(0)
	v_mov_b32_e32 v0, 0x4540
	flat_load_dword v4, v[0:1] glc
	s_waitcnt vmcnt(0)
	;; [unrolled: 3-line block ×32, first 2 shown]
	s_getpc_b64 s[6:7]
	s_add_u32 s6, s6, total_list_depth@rel32@lo+4
	s_addc_u32 s7, s7, total_list_depth@rel32@hi+12
	s_load_dwordx2 s[6:7], s[6:7], 0x0
	s_lshl_b64 s[8:9], s[28:29], 3
	v_mov_b32_e32 v1, 0
	v_mov_b32_e32 v12, v1
	s_waitcnt lgkmcnt(0)
	s_add_u32 s6, s6, s8
	s_addc_u32 s7, s7, s9
	s_getpc_b64 s[10:11]
	s_add_u32 s10, s10, total_num_inner_iterations@rel32@lo+4
	s_addc_u32 s11, s11, total_num_inner_iterations@rel32@hi+12
	s_load_dwordx2 s[10:11], s[10:11], 0x0
	s_waitcnt lgkmcnt(0)
	s_add_u32 s8, s10, s8
	s_addc_u32 s9, s11, s9
	v_add_u32_e32 v0, v5, v3
	v_add_u32_e32 v3, v6, v4
	v_add3_u32 v0, v7, v0, v9
	v_add3_u32 v3, v8, v3, v10
	;; [unrolled: 1-line block ×13, first 2 shown]
	global_store_dwordx2 v1, v[0:1], s[6:7]
	v_add3_u32 v11, v44, v3, v48
	global_store_dwordx2 v1, v[11:12], s[8:9]
.LBB1_402:
	s_or_b64 exec, exec, s[4:5]
	buffer_load_dword v1, off, s[0:3], 0 offset:8 ; 4-byte Folded Reload
	v_lshlrev_b32_e32 v0, 24, v2
	buffer_load_dword v2, off, s[0:3], 0 offset:12 ; 4-byte Folded Reload
	v_mov_b32_e32 v25, v41
	v_mov_b32_e32 v33, v58
	;; [unrolled: 1-line block ×3, first 2 shown]
	s_mov_b64 s[4:5], 0
	v_mov_b32_e32 v3, s35
	s_movk_i32 s6, 0x44
	s_waitcnt vmcnt(1)
	v_and_b32_e32 v1, 0xff, v1
	v_lshl_or_b32 v0, v1, 16, v0
	v_mov_b32_e32 v1, 8
	s_waitcnt vmcnt(0)
	v_lshlrev_b32_sdwa v1, v1, v2 dst_sel:DWORD dst_unused:UNUSED_PAD src0_sel:DWORD src1_sel:BYTE_0
	v_and_b32_e32 v2, 0xff, v45
	v_or3_b32 v22, v0, v1, v2
	buffer_load_dword v0, off, s[0:3], 0 offset:320 ; 4-byte Folded Reload
	buffer_load_dword v1, off, s[0:3], 0 offset:324 ; 4-byte Folded Reload
	v_lshl_add_u32 v2, s28, 11, v47
	s_waitcnt vmcnt(0)
	global_store_dwordx4 v[0:1], v[22:25], off
	buffer_load_dword v0, off, s[0:3], 0 offset:328 ; 4-byte Folded Reload
	s_nop 0
	buffer_load_dword v1, off, s[0:3], 0 offset:332 ; 4-byte Folded Reload
	s_waitcnt vmcnt(0)
	global_store_dwordx4 v[0:1], v[32:35], off
	buffer_load_dword v0, off, s[0:3], 0 offset:336 ; 4-byte Folded Reload
	s_nop 0
	buffer_load_dword v1, off, s[0:3], 0 offset:340 ; 4-byte Folded Reload
	s_waitcnt vmcnt(0)
	global_store_dwordx4 v[0:1], v[26:29], off
	v_mov_b32_e32 v1, 0
.LBB1_403:                              ; =>This Inner Loop Header: Depth=1
	ds_read_b32 v6, v40
	v_add_u32_e32 v0, v2, v39
	v_lshlrev_b64 v[4:5], 2, v[0:1]
	v_cmp_lt_u32_e32 vcc, s6, v39
	v_add_u32_e32 v7, 32, v39
	s_or_b64 s[4:5], vcc, s[4:5]
	v_add_co_u32_e32 v4, vcc, s34, v4
	v_add_u32_e32 v40, 0x80, v40
	v_mov_b32_e32 v39, v7
	v_addc_co_u32_e32 v5, vcc, v3, v5, vcc
	s_waitcnt lgkmcnt(0)
	global_store_dword v[4:5], v6, off
	s_andn2_b64 exec, exec, s[4:5]
	s_cbranch_execnz .LBB1_403
; %bb.404:
	s_endpgm
	.section	.rodata,"a",@progbits
	.p2align	6, 0x0
	.amdhsa_kernel _Z22simulation_step_kernelbb
		.amdhsa_group_segment_fixed_size 17808
		.amdhsa_private_segment_fixed_size 384
		.amdhsa_kernarg_size 264
		.amdhsa_user_sgpr_count 6
		.amdhsa_user_sgpr_private_segment_buffer 1
		.amdhsa_user_sgpr_dispatch_ptr 0
		.amdhsa_user_sgpr_queue_ptr 0
		.amdhsa_user_sgpr_kernarg_segment_ptr 1
		.amdhsa_user_sgpr_dispatch_id 0
		.amdhsa_user_sgpr_flat_scratch_init 0
		.amdhsa_user_sgpr_private_segment_size 0
		.amdhsa_uses_dynamic_stack 0
		.amdhsa_system_sgpr_private_segment_wavefront_offset 1
		.amdhsa_system_sgpr_workgroup_id_x 1
		.amdhsa_system_sgpr_workgroup_id_y 1
		.amdhsa_system_sgpr_workgroup_id_z 0
		.amdhsa_system_sgpr_workgroup_info 0
		.amdhsa_system_vgpr_workitem_id 0
		.amdhsa_next_free_vgpr 64
		.amdhsa_next_free_sgpr 100
		.amdhsa_reserve_vcc 1
		.amdhsa_reserve_flat_scratch 0
		.amdhsa_float_round_mode_32 0
		.amdhsa_float_round_mode_16_64 0
		.amdhsa_float_denorm_mode_32 3
		.amdhsa_float_denorm_mode_16_64 3
		.amdhsa_dx10_clamp 1
		.amdhsa_ieee_mode 1
		.amdhsa_fp16_overflow 0
		.amdhsa_exception_fp_ieee_invalid_op 0
		.amdhsa_exception_fp_denorm_src 0
		.amdhsa_exception_fp_ieee_div_zero 0
		.amdhsa_exception_fp_ieee_overflow 0
		.amdhsa_exception_fp_ieee_underflow 0
		.amdhsa_exception_fp_ieee_inexact 0
		.amdhsa_exception_int_div_zero 0
	.end_amdhsa_kernel
	.text
.Lfunc_end1:
	.size	_Z22simulation_step_kernelbb, .Lfunc_end1-_Z22simulation_step_kernelbb
                                        ; -- End function
	.set _Z22simulation_step_kernelbb.num_vgpr, max(64, .L_Z17MT_generate_arrayv.num_vgpr)
	.set _Z22simulation_step_kernelbb.num_agpr, max(0, .L_Z17MT_generate_arrayv.num_agpr)
	.set _Z22simulation_step_kernelbb.numbered_sgpr, max(100, .L_Z17MT_generate_arrayv.numbered_sgpr)
	.set _Z22simulation_step_kernelbb.num_named_barrier, max(0, .L_Z17MT_generate_arrayv.num_named_barrier)
	.set _Z22simulation_step_kernelbb.private_seg_size, 384+max(.L_Z17MT_generate_arrayv.private_seg_size)
	.set _Z22simulation_step_kernelbb.uses_vcc, or(1, .L_Z17MT_generate_arrayv.uses_vcc)
	.set _Z22simulation_step_kernelbb.uses_flat_scratch, or(0, .L_Z17MT_generate_arrayv.uses_flat_scratch)
	.set _Z22simulation_step_kernelbb.has_dyn_sized_stack, or(0, .L_Z17MT_generate_arrayv.has_dyn_sized_stack)
	.set _Z22simulation_step_kernelbb.has_recursion, or(0, .L_Z17MT_generate_arrayv.has_recursion)
	.set _Z22simulation_step_kernelbb.has_indirect_call, or(0, .L_Z17MT_generate_arrayv.has_indirect_call)
	.section	.AMDGPU.csdata,"",@progbits
; Kernel info:
; codeLenInByte = 21764
; TotalNumSgprs: 104
; NumVgprs: 64
; ScratchSize: 384
; MemoryBound: 1
; FloatMode: 240
; IeeeMode: 1
; LDSByteSize: 17808 bytes/workgroup (compile time only)
; SGPRBlocks: 12
; VGPRBlocks: 15
; NumSGPRsForWavesPerEU: 104
; NumVGPRsForWavesPerEU: 64
; Occupancy: 4
; WaveLimiterHint : 1
; COMPUTE_PGM_RSRC2:SCRATCH_EN: 1
; COMPUTE_PGM_RSRC2:USER_SGPR: 6
; COMPUTE_PGM_RSRC2:TRAP_HANDLER: 0
; COMPUTE_PGM_RSRC2:TGID_X_EN: 1
; COMPUTE_PGM_RSRC2:TGID_Y_EN: 1
; COMPUTE_PGM_RSRC2:TGID_Z_EN: 0
; COMPUTE_PGM_RSRC2:TIDIG_COMP_CNT: 0
	.text
	.protected	_Z26sum_detector_scores_kernelv ; -- Begin function _Z26sum_detector_scores_kernelv
	.globl	_Z26sum_detector_scores_kernelv
	.p2align	8
	.type	_Z26sum_detector_scores_kernelv,@function
_Z26sum_detector_scores_kernelv:        ; @_Z26sum_detector_scores_kernelv
; %bb.0:
	s_getpc_b64 s[0:1]
	s_add_u32 s0, s0, detector@rel32@lo+28
	s_addc_u32 s1, s1, detector@rel32@hi+36
	s_load_dwordx2 s[0:1], s[0:1], 0x0
	s_waitcnt lgkmcnt(0)
	s_mul_i32 s8, s1, s0
	v_cmp_gt_u32_e32 vcc, s8, v0
	s_and_saveexec_b64 s[0:1], vcc
	s_cbranch_execz .LBB2_5
; %bb.1:
	s_and_b32 s7, s6, 3
	s_getpc_b64 s[0:1]
	s_add_u32 s0, s0, detector_totals_energy@rel32@lo+4
	s_addc_u32 s1, s1, detector_totals_energy@rel32@hi+12
	s_getpc_b64 s[2:3]
	s_add_u32 s2, s2, detector_totals_count@rel32@lo+4
	s_addc_u32 s3, s3, detector_totals_count@rel32@hi+12
	s_lshl_b32 s7, s7, 3
	s_getpc_b64 s[10:11]
	s_add_u32 s10, s10, detector_scores_energy@rel32@lo+4
	s_addc_u32 s11, s11, detector_scores_energy@rel32@hi+12
	s_getpc_b64 s[12:13]
	s_add_u32 s12, s12, detector_scores_count@rel32@lo+4
	s_addc_u32 s13, s13, detector_scores_count@rel32@hi+12
	s_cmp_lt_u32 s6, 4
	s_cselect_b32 s3, s1, s3
	s_cselect_b32 s2, s0, s2
	s_load_dwordx2 s[0:1], s[2:3], s7 offset:0x0
	s_load_dword s6, s[4:5], 0xc
	s_cselect_b32 s3, s10, s12
	s_cselect_b32 s2, s11, s13
	s_add_u32 s9, s3, s7
	s_addc_u32 s10, s2, 0
	s_waitcnt lgkmcnt(0)
	s_and_b32 s11, s6, 0xffff
	s_mov_b64 s[2:3], 0
	v_mov_b32_e32 v1, 0
	v_mov_b32_e32 v6, s1
.LBB2_2:                                ; =>This Loop Header: Depth=1
                                        ;     Child Loop BB2_3 Depth 2
	v_mov_b32_e32 v4, 0
	v_lshlrev_b64 v[2:3], 2, v[0:1]
	v_mov_b32_e32 v5, 0
	s_mov_b64 s[4:5], 0
.LBB2_3:                                ;   Parent Loop BB2_2 Depth=1
                                        ; =>  This Inner Loop Header: Depth=2
	s_add_u32 s6, s9, s4
	s_addc_u32 s7, s10, s5
	s_load_dwordx2 s[12:13], s[6:7], 0x0
	s_load_dwordx2 s[14:15], s[6:7], 0x20
	;; [unrolled: 1-line block ×4, first 2 shown]
	s_add_u32 s4, s4, 0x200
	s_waitcnt lgkmcnt(0)
	v_mov_b32_e32 v8, s13
	v_add_co_u32_e32 v7, vcc, s12, v2
	v_addc_co_u32_e32 v8, vcc, v8, v3, vcc
	global_load_dword v9, v[7:8], off
	v_mov_b32_e32 v8, s15
	v_add_co_u32_e32 v7, vcc, s14, v2
	v_addc_co_u32_e32 v8, vcc, v8, v3, vcc
	global_load_dword v8, v[7:8], off
	;; [unrolled: 4-line block ×3, first 2 shown]
	v_mov_b32_e32 v11, s19
	v_add_co_u32_e32 v10, vcc, s18, v2
	v_addc_co_u32_e32 v11, vcc, v11, v3, vcc
	s_load_dwordx2 s[12:13], s[6:7], 0x80
	s_load_dwordx2 s[14:15], s[6:7], 0xa0
	global_load_dword v10, v[10:11], off
	s_load_dwordx2 s[16:17], s[6:7], 0xc0
	s_load_dwordx2 s[18:19], s[6:7], 0xe0
	s_addc_u32 s5, s5, 0
	s_waitcnt lgkmcnt(0)
	v_mov_b32_e32 v12, s13
	v_add_co_u32_e32 v11, vcc, s12, v2
	v_addc_co_u32_e32 v12, vcc, v12, v3, vcc
	global_load_dword v15, v[11:12], off
	v_mov_b32_e32 v12, s15
	v_add_co_u32_e32 v11, vcc, s14, v2
	v_addc_co_u32_e32 v12, vcc, v12, v3, vcc
	global_load_dword v16, v[11:12], off
	;; [unrolled: 4-line block ×3, first 2 shown]
	v_mov_b32_e32 v12, s19
	v_add_co_u32_e32 v11, vcc, s18, v2
	v_addc_co_u32_e32 v12, vcc, v12, v3, vcc
	s_load_dwordx2 s[12:13], s[6:7], 0x100
	s_load_dwordx2 s[14:15], s[6:7], 0x120
	;; [unrolled: 1-line block ×3, first 2 shown]
	global_load_dword v18, v[11:12], off
	s_load_dwordx2 s[18:19], s[6:7], 0x160
	s_load_dwordx2 s[20:21], s[6:7], 0x180
	s_cmpk_eq_i32 s4, 0xa00
	s_waitcnt lgkmcnt(0)
	v_mov_b32_e32 v12, s13
	v_add_co_u32_e32 v11, vcc, s12, v2
	v_addc_co_u32_e32 v12, vcc, v12, v3, vcc
	global_load_dword v19, v[11:12], off
	v_mov_b32_e32 v12, s15
	v_add_co_u32_e32 v11, vcc, s14, v2
	v_addc_co_u32_e32 v12, vcc, v12, v3, vcc
	s_load_dwordx2 s[12:13], s[6:7], 0x1a0
	s_load_dwordx2 s[22:23], s[6:7], 0x1c0
	global_load_dword v20, v[11:12], off
	v_mov_b32_e32 v12, s17
	v_add_co_u32_e32 v11, vcc, s16, v2
	v_addc_co_u32_e32 v12, vcc, v12, v3, vcc
	global_load_dword v21, v[11:12], off
	v_add_co_u32_e32 v13, vcc, s18, v2
	s_load_dwordx2 s[6:7], s[6:7], 0x1e0
	s_waitcnt vmcnt(10)
	v_cvt_f64_f32_e32 v[11:12], v9
	v_mov_b32_e32 v9, s19
	v_addc_co_u32_e32 v14, vcc, v9, v3, vcc
	v_add_f64 v[4:5], v[4:5], v[11:12]
	global_load_dword v13, v[13:14], off
	s_waitcnt vmcnt(10)
	v_cvt_f64_f32_e32 v[8:9], v8
	v_mov_b32_e32 v12, s21
	v_add_co_u32_e32 v11, vcc, s20, v2
	v_addc_co_u32_e32 v12, vcc, v12, v3, vcc
	v_add_f64 v[4:5], v[4:5], v[8:9]
	global_load_dword v14, v[11:12], off
	s_waitcnt vmcnt(10)
	v_cvt_f64_f32_e32 v[7:8], v7
	s_waitcnt lgkmcnt(0)
	v_mov_b32_e32 v9, s13
	v_add_co_u32_e32 v11, vcc, s12, v2
	v_addc_co_u32_e32 v12, vcc, v9, v3, vcc
	v_add_f64 v[4:5], v[4:5], v[7:8]
	global_load_dword v11, v[11:12], off
	s_waitcnt vmcnt(10)
	v_cvt_f64_f32_e32 v[7:8], v10
	v_mov_b32_e32 v10, s23
	v_add_co_u32_e32 v9, vcc, s22, v2
	v_addc_co_u32_e32 v10, vcc, v10, v3, vcc
	v_add_f64 v[4:5], v[4:5], v[7:8]
	global_load_dword v12, v[9:10], off
	s_waitcnt vmcnt(10)
	v_cvt_f64_f32_e32 v[7:8], v15
	;; [unrolled: 7-line block ×3, first 2 shown]
	v_add_f64 v[4:5], v[4:5], v[7:8]
	s_waitcnt vmcnt(9)
	v_cvt_f64_f32_e32 v[7:8], v17
	v_add_f64 v[4:5], v[4:5], v[7:8]
	s_waitcnt vmcnt(8)
	v_cvt_f64_f32_e32 v[7:8], v18
	v_add_f64 v[4:5], v[4:5], v[7:8]
	s_waitcnt vmcnt(7)
	v_cvt_f64_f32_e32 v[7:8], v19
	v_add_f64 v[4:5], v[4:5], v[7:8]
	s_waitcnt vmcnt(6)
	v_cvt_f64_f32_e32 v[7:8], v20
	v_add_f64 v[4:5], v[4:5], v[7:8]
	s_waitcnt vmcnt(5)
	v_cvt_f64_f32_e32 v[7:8], v21
	v_add_f64 v[4:5], v[4:5], v[7:8]
	s_waitcnt vmcnt(4)
	v_cvt_f64_f32_e32 v[7:8], v13
	v_add_f64 v[4:5], v[4:5], v[7:8]
	s_waitcnt vmcnt(3)
	v_cvt_f64_f32_e32 v[7:8], v14
	v_add_f64 v[4:5], v[4:5], v[7:8]
	s_waitcnt vmcnt(2)
	v_cvt_f64_f32_e32 v[7:8], v11
	v_add_f64 v[4:5], v[4:5], v[7:8]
	s_waitcnt vmcnt(1)
	v_cvt_f64_f32_e32 v[7:8], v12
	v_add_f64 v[4:5], v[4:5], v[7:8]
	s_waitcnt vmcnt(0)
	v_cvt_f64_f32_e32 v[7:8], v9
	v_add_f64 v[4:5], v[4:5], v[7:8]
	s_cbranch_scc0 .LBB2_3
; %bb.4:                                ;   in Loop: Header=BB2_2 Depth=1
	v_lshlrev_b64 v[2:3], 3, v[0:1]
	v_add_u32_e32 v0, s11, v0
	v_add_co_u32_e32 v2, vcc, s0, v2
	v_addc_co_u32_e32 v3, vcc, v6, v3, vcc
	global_load_dwordx2 v[7:8], v[2:3], off
	v_cmp_le_u32_e32 vcc, s8, v0
	s_or_b64 s[2:3], vcc, s[2:3]
	s_waitcnt vmcnt(0)
	v_add_f64 v[4:5], v[4:5], v[7:8]
	global_store_dwordx2 v[2:3], v[4:5], off
	s_andn2_b64 exec, exec, s[2:3]
	s_cbranch_execnz .LBB2_2
.LBB2_5:
	s_endpgm
	.section	.rodata,"a",@progbits
	.p2align	6, 0x0
	.amdhsa_kernel _Z26sum_detector_scores_kernelv
		.amdhsa_group_segment_fixed_size 0
		.amdhsa_private_segment_fixed_size 0
		.amdhsa_kernarg_size 256
		.amdhsa_user_sgpr_count 6
		.amdhsa_user_sgpr_private_segment_buffer 1
		.amdhsa_user_sgpr_dispatch_ptr 0
		.amdhsa_user_sgpr_queue_ptr 0
		.amdhsa_user_sgpr_kernarg_segment_ptr 1
		.amdhsa_user_sgpr_dispatch_id 0
		.amdhsa_user_sgpr_flat_scratch_init 0
		.amdhsa_user_sgpr_private_segment_size 0
		.amdhsa_uses_dynamic_stack 0
		.amdhsa_system_sgpr_private_segment_wavefront_offset 0
		.amdhsa_system_sgpr_workgroup_id_x 1
		.amdhsa_system_sgpr_workgroup_id_y 0
		.amdhsa_system_sgpr_workgroup_id_z 0
		.amdhsa_system_sgpr_workgroup_info 0
		.amdhsa_system_vgpr_workitem_id 0
		.amdhsa_next_free_vgpr 22
		.amdhsa_next_free_sgpr 24
		.amdhsa_reserve_vcc 1
		.amdhsa_reserve_flat_scratch 0
		.amdhsa_float_round_mode_32 0
		.amdhsa_float_round_mode_16_64 0
		.amdhsa_float_denorm_mode_32 3
		.amdhsa_float_denorm_mode_16_64 3
		.amdhsa_dx10_clamp 1
		.amdhsa_ieee_mode 1
		.amdhsa_fp16_overflow 0
		.amdhsa_exception_fp_ieee_invalid_op 0
		.amdhsa_exception_fp_denorm_src 0
		.amdhsa_exception_fp_ieee_div_zero 0
		.amdhsa_exception_fp_ieee_overflow 0
		.amdhsa_exception_fp_ieee_underflow 0
		.amdhsa_exception_fp_ieee_inexact 0
		.amdhsa_exception_int_div_zero 0
	.end_amdhsa_kernel
	.text
.Lfunc_end2:
	.size	_Z26sum_detector_scores_kernelv, .Lfunc_end2-_Z26sum_detector_scores_kernelv
                                        ; -- End function
	.set _Z26sum_detector_scores_kernelv.num_vgpr, 22
	.set _Z26sum_detector_scores_kernelv.num_agpr, 0
	.set _Z26sum_detector_scores_kernelv.numbered_sgpr, 24
	.set _Z26sum_detector_scores_kernelv.num_named_barrier, 0
	.set _Z26sum_detector_scores_kernelv.private_seg_size, 0
	.set _Z26sum_detector_scores_kernelv.uses_vcc, 1
	.set _Z26sum_detector_scores_kernelv.uses_flat_scratch, 0
	.set _Z26sum_detector_scores_kernelv.has_dyn_sized_stack, 0
	.set _Z26sum_detector_scores_kernelv.has_recursion, 0
	.set _Z26sum_detector_scores_kernelv.has_indirect_call, 0
	.section	.AMDGPU.csdata,"",@progbits
; Kernel info:
; codeLenInByte = 1040
; TotalNumSgprs: 28
; NumVgprs: 22
; ScratchSize: 0
; MemoryBound: 0
; FloatMode: 240
; IeeeMode: 1
; LDSByteSize: 0 bytes/workgroup (compile time only)
; SGPRBlocks: 3
; VGPRBlocks: 5
; NumSGPRsForWavesPerEU: 28
; NumVGPRsForWavesPerEU: 22
; Occupancy: 10
; WaveLimiterHint : 0
; COMPUTE_PGM_RSRC2:SCRATCH_EN: 0
; COMPUTE_PGM_RSRC2:USER_SGPR: 6
; COMPUTE_PGM_RSRC2:TRAP_HANDLER: 0
; COMPUTE_PGM_RSRC2:TGID_X_EN: 1
; COMPUTE_PGM_RSRC2:TGID_Y_EN: 0
; COMPUTE_PGM_RSRC2:TGID_Z_EN: 0
; COMPUTE_PGM_RSRC2:TIDIG_COMP_CNT: 0
	.section	.AMDGPU.gpr_maximums,"",@progbits
	.set amdgpu.max_num_vgpr, 32
	.set amdgpu.max_num_agpr, 0
	.set amdgpu.max_num_sgpr, 32
	.section	.AMDGPU.csdata,"",@progbits
	.protected	stack                   ; @stack
	.type	stack,@object
	.section	.rodata,"a",@progbits
	.globl	stack
	.p2align	3, 0x0
stack:
	.zero	24
	.size	stack, 24

	.protected	total_list_depth        ; @total_list_depth
	.type	total_list_depth,@object
	.globl	total_list_depth
	.p2align	3, 0x0
total_list_depth:
	.quad	0
	.size	total_list_depth, 8

	.protected	total_num_inner_iterations ; @total_num_inner_iterations
	.type	total_num_inner_iterations,@object
	.globl	total_num_inner_iterations
	.p2align	3, 0x0
total_num_inner_iterations:
	.quad	0
	.size	total_num_inner_iterations, 8

	.protected	detector_scores_count   ; @detector_scores_count
	.type	detector_scores_count,@object
	.globl	detector_scores_count
	.p2align	4, 0x0
detector_scores_count:
	.zero	2560
	.size	detector_scores_count, 2560

	.protected	detector_scores_energy  ; @detector_scores_energy
	.type	detector_scores_energy,@object
	.globl	detector_scores_energy
	.p2align	4, 0x0
detector_scores_energy:
	.zero	2560
	.size	detector_scores_energy, 2560

	.protected	detector_totals_count   ; @detector_totals_count
	.type	detector_totals_count,@object
	.globl	detector_totals_count
	.p2align	4, 0x0
detector_totals_count:
	.zero	32
	.size	detector_totals_count, 32

	.protected	detector_totals_energy  ; @detector_totals_energy
	.type	detector_totals_energy,@object
	.globl	detector_totals_energy
	.p2align	4, 0x0
detector_totals_energy:
	.zero	32
	.size	detector_totals_energy, 32

	.protected	total_weights           ; @total_weights
	.type	total_weights,@object
	.globl	total_weights
	.p2align	3, 0x0
total_weights:
	.quad	0
	.size	total_weights, 8

	.protected	total_step_counts       ; @total_step_counts
	.type	total_step_counts,@object
	.globl	total_step_counts
	.p2align	3, 0x0
total_step_counts:
	.quad	0
	.size	total_step_counts, 8

	.protected	MT_statuses             ; @MT_statuses
	.type	MT_statuses,@object
	.globl	MT_statuses
	.p2align	3, 0x0
MT_statuses:
	.quad	0
	.size	MT_statuses, 8

	.protected	MT_params               ; @MT_params
	.type	MT_params,@object
	.globl	MT_params
	.p2align	3, 0x0
MT_params:
	.quad	0
	.size	MT_params, 8

	.protected	MT_tables               ; @MT_tables
	.type	MT_tables,@object
	.globl	MT_tables
	.p2align	3, 0x0
MT_tables:
	.quad	0
	.size	MT_tables, 8

	.protected	detector                ; @detector
	.type	detector,@object
	.globl	detector
	.p2align	3, 0x0
detector:
	.zero	32
	.size	detector, 32

	.protected	source                  ; @source
	.type	source,@object
	.globl	source
	.p2align	3, 0x0
source:
	.zero	80
	.size	source, 80

	.protected	phantom                 ; @phantom
	.type	phantom,@object
	.globl	phantom
	.p2align	3, 0x0
phantom:
	.zero	40
	.size	phantom, 40

	.protected	region_data             ; @region_data
	.type	region_data,@object
	.globl	region_data
	.p2align	3, 0x0
region_data:
	.quad	0
	.size	region_data, 8

	.protected	ge                      ; @ge
	.type	ge,@object
	.globl	ge
	.p2align	3, 0x0
ge:
	.quad	0
	.size	ge, 8

	.protected	gmfp                    ; @gmfp
	.type	gmfp,@object
	.globl	gmfp
	.p2align	3, 0x0
gmfp:
	.quad	0
	.size	gmfp, 8

	.protected	gbr1                    ; @gbr1
	.type	gbr1,@object
	.globl	gbr1
	.p2align	3, 0x0
gbr1:
	.quad	0
	.size	gbr1, 8

	.protected	gbr2                    ; @gbr2
	.type	gbr2,@object
	.globl	gbr2
	.p2align	3, 0x0
gbr2:
	.quad	0
	.size	gbr2, 8

	.protected	cohe                    ; @cohe
	.type	cohe,@object
	.globl	cohe
	.p2align	3, 0x0
cohe:
	.quad	0
	.size	cohe, 8

	.protected	pmax                    ; @pmax
	.type	pmax,@object
	.globl	pmax
	.p2align	3, 0x0
pmax:
	.quad	0
	.size	pmax, 8

	.protected	rayleigh_data           ; @rayleigh_data
	.type	rayleigh_data,@object
	.globl	rayleigh_data
	.p2align	3, 0x0
rayleigh_data:
	.quad	0
	.size	rayleigh_data, 8

	.protected	i_array                 ; @i_array
	.type	i_array,@object
	.globl	i_array
	.p2align	3, 0x0
i_array:
	.quad	0
	.size	i_array, 8

	.type	__hip_cuid_2247f2dd65cf79bc,@object ; @__hip_cuid_2247f2dd65cf79bc
	.section	.bss,"aw",@nobits
	.globl	__hip_cuid_2247f2dd65cf79bc
__hip_cuid_2247f2dd65cf79bc:
	.byte	0                               ; 0x0
	.size	__hip_cuid_2247f2dd65cf79bc, 1

	.ident	"AMD clang version 22.0.0git (https://github.com/RadeonOpenCompute/llvm-project roc-7.2.4 26084 f58b06dce1f9c15707c5f808fd002e18c2accf7e)"
	.section	".note.GNU-stack","",@progbits
	.addrsig
	.addrsig_sym stack
	.addrsig_sym total_list_depth
	.addrsig_sym total_num_inner_iterations
	.addrsig_sym detector_scores_count
	.addrsig_sym detector_scores_energy
	.addrsig_sym detector_totals_count
	.addrsig_sym detector_totals_energy
	.addrsig_sym total_weights
	.addrsig_sym total_step_counts
	.addrsig_sym MT_statuses
	.addrsig_sym MT_params
	.addrsig_sym MT_tables
	.addrsig_sym detector
	.addrsig_sym source
	.addrsig_sym phantom
	.addrsig_sym region_data
	.addrsig_sym ge
	.addrsig_sym gmfp
	.addrsig_sym gbr1
	.addrsig_sym gbr2
	.addrsig_sym cohe
	.addrsig_sym pmax
	.addrsig_sym rayleigh_data
	.addrsig_sym i_array
	.addrsig_sym __hip_cuid_2247f2dd65cf79bc
	.amdgpu_metadata
---
amdhsa.kernels:
  - .args:
      - .offset:         0
        .size:           1
        .value_kind:     by_value
      - .offset:         1
        .size:           1
        .value_kind:     by_value
      - .offset:         8
        .size:           4
        .value_kind:     hidden_block_count_x
      - .offset:         12
        .size:           4
        .value_kind:     hidden_block_count_y
      - .offset:         16
        .size:           4
        .value_kind:     hidden_block_count_z
      - .offset:         20
        .size:           2
        .value_kind:     hidden_group_size_x
      - .offset:         22
        .size:           2
        .value_kind:     hidden_group_size_y
      - .offset:         24
        .size:           2
        .value_kind:     hidden_group_size_z
      - .offset:         26
        .size:           2
        .value_kind:     hidden_remainder_x
      - .offset:         28
        .size:           2
        .value_kind:     hidden_remainder_y
      - .offset:         30
        .size:           2
        .value_kind:     hidden_remainder_z
      - .offset:         48
        .size:           8
        .value_kind:     hidden_global_offset_x
      - .offset:         56
        .size:           8
        .value_kind:     hidden_global_offset_y
      - .offset:         64
        .size:           8
        .value_kind:     hidden_global_offset_z
      - .offset:         72
        .size:           2
        .value_kind:     hidden_grid_dims
    .group_segment_fixed_size: 17808
    .kernarg_segment_align: 8
    .kernarg_segment_size: 264
    .language:       OpenCL C
    .language_version:
      - 2
      - 0
    .max_flat_workgroup_size: 1024
    .name:           _Z22simulation_step_kernelbb
    .private_segment_fixed_size: 384
    .sgpr_count:     104
    .sgpr_spill_count: 27
    .symbol:         _Z22simulation_step_kernelbb.kd
    .uniform_work_group_size: 1
    .uses_dynamic_stack: false
    .vgpr_count:     64
    .vgpr_spill_count: 96
    .wavefront_size: 64
  - .args:
      - .offset:         0
        .size:           4
        .value_kind:     hidden_block_count_x
      - .offset:         4
        .size:           4
        .value_kind:     hidden_block_count_y
      - .offset:         8
        .size:           4
        .value_kind:     hidden_block_count_z
      - .offset:         12
        .size:           2
        .value_kind:     hidden_group_size_x
      - .offset:         14
        .size:           2
        .value_kind:     hidden_group_size_y
      - .offset:         16
        .size:           2
        .value_kind:     hidden_group_size_z
      - .offset:         18
        .size:           2
        .value_kind:     hidden_remainder_x
      - .offset:         20
        .size:           2
        .value_kind:     hidden_remainder_y
      - .offset:         22
        .size:           2
        .value_kind:     hidden_remainder_z
      - .offset:         40
        .size:           8
        .value_kind:     hidden_global_offset_x
      - .offset:         48
        .size:           8
        .value_kind:     hidden_global_offset_y
      - .offset:         56
        .size:           8
        .value_kind:     hidden_global_offset_z
      - .offset:         64
        .size:           2
        .value_kind:     hidden_grid_dims
    .group_segment_fixed_size: 0
    .kernarg_segment_align: 8
    .kernarg_segment_size: 256
    .language:       OpenCL C
    .language_version:
      - 2
      - 0
    .max_flat_workgroup_size: 1024
    .name:           _Z26sum_detector_scores_kernelv
    .private_segment_fixed_size: 0
    .sgpr_count:     28
    .sgpr_spill_count: 0
    .symbol:         _Z26sum_detector_scores_kernelv.kd
    .uniform_work_group_size: 1
    .uses_dynamic_stack: false
    .vgpr_count:     22
    .vgpr_spill_count: 0
    .wavefront_size: 64
amdhsa.target:   amdgcn-amd-amdhsa--gfx906
amdhsa.version:
  - 1
  - 2
...

	.end_amdgpu_metadata
